;; amdgpu-corpus repo=ROCm/rocFFT kind=compiled arch=gfx950 opt=O3
	.text
	.amdgcn_target "amdgcn-amd-amdhsa--gfx950"
	.amdhsa_code_object_version 6
	.protected	fft_rtc_back_len320_factors_10_4_4_2_wgs_64_tpt_16_halfLds_sp_op_CI_CI_unitstride_sbrr_R2C_dirReg ; -- Begin function fft_rtc_back_len320_factors_10_4_4_2_wgs_64_tpt_16_halfLds_sp_op_CI_CI_unitstride_sbrr_R2C_dirReg
	.globl	fft_rtc_back_len320_factors_10_4_4_2_wgs_64_tpt_16_halfLds_sp_op_CI_CI_unitstride_sbrr_R2C_dirReg
	.p2align	8
	.type	fft_rtc_back_len320_factors_10_4_4_2_wgs_64_tpt_16_halfLds_sp_op_CI_CI_unitstride_sbrr_R2C_dirReg,@function
fft_rtc_back_len320_factors_10_4_4_2_wgs_64_tpt_16_halfLds_sp_op_CI_CI_unitstride_sbrr_R2C_dirReg: ; @fft_rtc_back_len320_factors_10_4_4_2_wgs_64_tpt_16_halfLds_sp_op_CI_CI_unitstride_sbrr_R2C_dirReg
; %bb.0:
	s_load_dwordx4 s[4:7], s[0:1], 0x58
	s_load_dwordx4 s[8:11], s[0:1], 0x0
	;; [unrolled: 1-line block ×3, first 2 shown]
	v_lshrrev_b32_e32 v1, 4, v0
	v_lshl_or_b32 v6, s2, 2, v1
	v_mov_b32_e32 v4, 0
	s_waitcnt lgkmcnt(0)
	v_cmp_lt_u64_e64 s[2:3], s[10:11], 2
	v_mov_b32_e32 v7, v4
	s_and_b64 vcc, exec, s[2:3]
	v_mov_b64_e32 v[2:3], 0
	s_cbranch_vccnz .LBB0_8
; %bb.1:
	s_load_dwordx2 s[2:3], s[0:1], 0x10
	s_add_u32 s16, s14, 8
	s_addc_u32 s17, s15, 0
	s_add_u32 s18, s12, 8
	s_addc_u32 s19, s13, 0
	s_waitcnt lgkmcnt(0)
	s_add_u32 s20, s2, 8
	v_mov_b64_e32 v[2:3], 0
	s_addc_u32 s21, s3, 0
	s_mov_b64 s[22:23], 1
	v_mov_b64_e32 v[36:37], v[2:3]
.LBB0_2:                                ; =>This Inner Loop Header: Depth=1
	s_load_dwordx2 s[24:25], s[20:21], 0x0
                                        ; implicit-def: $vgpr40_vgpr41
	s_waitcnt lgkmcnt(0)
	v_or_b32_e32 v5, s25, v7
	v_cmp_ne_u64_e32 vcc, 0, v[4:5]
	s_and_saveexec_b64 s[2:3], vcc
	s_xor_b64 s[26:27], exec, s[2:3]
	s_cbranch_execz .LBB0_4
; %bb.3:                                ;   in Loop: Header=BB0_2 Depth=1
	v_cvt_f32_u32_e32 v5, s24
	v_cvt_f32_u32_e32 v8, s25
	s_sub_u32 s2, 0, s24
	s_subb_u32 s3, 0, s25
	v_fmac_f32_e32 v5, 0x4f800000, v8
	v_rcp_f32_e32 v5, v5
	s_nop 0
	v_mul_f32_e32 v5, 0x5f7ffffc, v5
	v_mul_f32_e32 v8, 0x2f800000, v5
	v_trunc_f32_e32 v8, v8
	v_fmac_f32_e32 v5, 0xcf800000, v8
	v_cvt_u32_f32_e32 v12, v8
	v_cvt_u32_f32_e32 v5, v5
	v_mul_lo_u32 v8, s2, v12
	v_mul_hi_u32 v10, s2, v5
	v_mul_lo_u32 v9, s3, v5
	v_add_u32_e32 v10, v10, v8
	v_mul_lo_u32 v13, s2, v5
	v_add_u32_e32 v14, v10, v9
	v_mul_hi_u32 v8, v5, v13
	v_mul_hi_u32 v11, v5, v14
	v_mul_lo_u32 v10, v5, v14
	v_mov_b32_e32 v9, v4
	v_lshl_add_u64 v[8:9], v[8:9], 0, v[10:11]
	v_mul_hi_u32 v11, v12, v13
	v_mul_lo_u32 v13, v12, v13
	v_add_co_u32_e32 v8, vcc, v8, v13
	v_mul_hi_u32 v10, v12, v14
	s_nop 0
	v_addc_co_u32_e32 v8, vcc, v9, v11, vcc
	v_mov_b32_e32 v9, v4
	s_nop 0
	v_addc_co_u32_e32 v11, vcc, 0, v10, vcc
	v_mul_lo_u32 v10, v12, v14
	v_lshl_add_u64 v[8:9], v[8:9], 0, v[10:11]
	v_add_co_u32_e32 v5, vcc, v5, v8
	v_mul_lo_u32 v10, s2, v5
	s_nop 0
	v_addc_co_u32_e32 v12, vcc, v12, v9, vcc
	v_mul_lo_u32 v8, s2, v12
	v_mul_hi_u32 v9, s2, v5
	v_add_u32_e32 v8, v9, v8
	v_mul_lo_u32 v9, s3, v5
	v_add_u32_e32 v13, v8, v9
	v_mul_hi_u32 v15, v12, v10
	v_mul_lo_u32 v16, v12, v10
	v_mul_hi_u32 v9, v5, v13
	v_mul_lo_u32 v8, v5, v13
	v_mul_hi_u32 v10, v5, v10
	v_mov_b32_e32 v11, v4
	v_lshl_add_u64 v[8:9], v[10:11], 0, v[8:9]
	v_add_co_u32_e32 v8, vcc, v8, v16
	v_mul_hi_u32 v14, v12, v13
	s_nop 0
	v_addc_co_u32_e32 v8, vcc, v9, v15, vcc
	v_mul_lo_u32 v10, v12, v13
	s_nop 0
	v_addc_co_u32_e32 v11, vcc, 0, v14, vcc
	v_mov_b32_e32 v9, v4
	v_lshl_add_u64 v[8:9], v[8:9], 0, v[10:11]
	v_add_co_u32_e32 v5, vcc, v5, v8
	v_mul_hi_u32 v10, v6, v5
	s_nop 0
	v_addc_co_u32_e32 v12, vcc, v12, v9, vcc
	v_mad_u64_u32 v[8:9], s[2:3], v6, v12, 0
	v_mov_b32_e32 v11, v4
	v_lshl_add_u64 v[8:9], v[10:11], 0, v[8:9]
	v_mad_u64_u32 v[10:11], s[2:3], v7, v12, 0
	v_mad_u64_u32 v[12:13], s[2:3], v7, v5, 0
	v_add_co_u32_e32 v5, vcc, v8, v12
	s_nop 1
	v_addc_co_u32_e32 v8, vcc, v9, v13, vcc
	v_mov_b32_e32 v9, v4
	s_nop 0
	v_addc_co_u32_e32 v11, vcc, 0, v11, vcc
	v_lshl_add_u64 v[8:9], v[8:9], 0, v[10:11]
	v_mul_lo_u32 v5, s25, v8
	v_mul_lo_u32 v12, s24, v9
	v_mad_u64_u32 v[10:11], s[2:3], s24, v8, 0
	v_add3_u32 v5, v11, v12, v5
	v_sub_u32_e32 v11, v7, v5
	v_mov_b32_e32 v12, s25
	v_sub_co_u32_e32 v14, vcc, v6, v10
	s_nop 1
	v_subb_co_u32_e64 v10, s[2:3], v11, v12, vcc
	v_subrev_co_u32_e64 v11, s[2:3], s24, v14
	v_subb_co_u32_e32 v5, vcc, v7, v5, vcc
	s_nop 0
	v_subbrev_co_u32_e64 v10, s[2:3], 0, v10, s[2:3]
	v_cmp_le_u32_e64 s[2:3], s25, v10
	v_cmp_le_u32_e32 vcc, s25, v5
	s_nop 0
	v_cndmask_b32_e64 v12, 0, -1, s[2:3]
	v_cmp_le_u32_e64 s[2:3], s24, v11
	s_nop 1
	v_cndmask_b32_e64 v11, 0, -1, s[2:3]
	v_cmp_eq_u32_e64 s[2:3], s25, v10
	s_nop 1
	v_cndmask_b32_e64 v15, v12, v11, s[2:3]
	v_lshl_add_u64 v[10:11], v[8:9], 0, 2
	v_lshl_add_u64 v[12:13], v[8:9], 0, 1
	v_cmp_ne_u32_e64 s[2:3], 0, v15
	s_nop 1
	v_cndmask_b32_e64 v11, v13, v11, s[2:3]
	v_cndmask_b32_e64 v13, 0, -1, vcc
	v_cmp_le_u32_e32 vcc, s24, v14
	s_nop 1
	v_cndmask_b32_e64 v14, 0, -1, vcc
	v_cmp_eq_u32_e32 vcc, s25, v5
	s_nop 1
	v_cndmask_b32_e32 v5, v13, v14, vcc
	v_cmp_ne_u32_e32 vcc, 0, v5
	v_cndmask_b32_e64 v5, v12, v10, s[2:3]
	s_nop 0
	v_cndmask_b32_e32 v41, v9, v11, vcc
	v_cndmask_b32_e32 v40, v8, v5, vcc
.LBB0_4:                                ;   in Loop: Header=BB0_2 Depth=1
	s_andn2_saveexec_b64 s[2:3], s[26:27]
	s_cbranch_execz .LBB0_6
; %bb.5:                                ;   in Loop: Header=BB0_2 Depth=1
	v_cvt_f32_u32_e32 v5, s24
	s_sub_i32 s26, 0, s24
	v_mov_b32_e32 v41, v4
	v_rcp_iflag_f32_e32 v5, v5
	s_nop 0
	v_mul_f32_e32 v5, 0x4f7ffffe, v5
	v_cvt_u32_f32_e32 v5, v5
	v_mul_lo_u32 v8, s26, v5
	v_mul_hi_u32 v8, v5, v8
	v_add_u32_e32 v5, v5, v8
	v_mul_hi_u32 v5, v6, v5
	v_mul_lo_u32 v8, v5, s24
	v_sub_u32_e32 v8, v6, v8
	v_add_u32_e32 v9, 1, v5
	v_subrev_u32_e32 v10, s24, v8
	v_cmp_le_u32_e32 vcc, s24, v8
	s_nop 1
	v_cndmask_b32_e32 v8, v8, v10, vcc
	v_cndmask_b32_e32 v5, v5, v9, vcc
	v_add_u32_e32 v9, 1, v5
	v_cmp_le_u32_e32 vcc, s24, v8
	s_nop 1
	v_cndmask_b32_e32 v40, v5, v9, vcc
.LBB0_6:                                ;   in Loop: Header=BB0_2 Depth=1
	s_or_b64 exec, exec, s[2:3]
	v_mad_u64_u32 v[8:9], s[2:3], v40, s24, 0
	s_load_dwordx2 s[2:3], s[18:19], 0x0
	v_mul_lo_u32 v5, v41, s24
	v_mul_lo_u32 v10, v40, s25
	s_load_dwordx2 s[24:25], s[16:17], 0x0
	s_add_u32 s22, s22, 1
	v_add3_u32 v5, v9, v10, v5
	v_sub_co_u32_e32 v6, vcc, v6, v8
	s_addc_u32 s23, s23, 0
	s_nop 0
	v_subb_co_u32_e32 v5, vcc, v7, v5, vcc
	s_add_u32 s16, s16, 8
	s_waitcnt lgkmcnt(0)
	v_mul_lo_u32 v7, s2, v5
	v_mul_lo_u32 v8, s3, v6
	v_mad_u64_u32 v[2:3], s[2:3], s2, v6, v[2:3]
	s_addc_u32 s17, s17, 0
	v_add3_u32 v3, v8, v3, v7
	v_mul_lo_u32 v5, s24, v5
	v_mul_lo_u32 v7, s25, v6
	v_mad_u64_u32 v[36:37], s[2:3], s24, v6, v[36:37]
	s_add_u32 s18, s18, 8
	v_add3_u32 v37, v7, v37, v5
	s_addc_u32 s19, s19, 0
	v_mov_b64_e32 v[6:7], s[10:11]
	s_add_u32 s20, s20, 8
	v_cmp_ge_u64_e32 vcc, s[22:23], v[6:7]
	s_addc_u32 s21, s21, 0
	s_cbranch_vccnz .LBB0_9
; %bb.7:                                ;   in Loop: Header=BB0_2 Depth=1
	v_mov_b64_e32 v[6:7], v[40:41]
	s_branch .LBB0_2
.LBB0_8:
	v_mov_b64_e32 v[36:37], v[2:3]
	v_mov_b64_e32 v[40:41], v[6:7]
.LBB0_9:
	s_load_dwordx2 s[0:1], s[0:1], 0x28
	s_lshl_b64 s[10:11], s[10:11], 3
	s_add_u32 s2, s14, s10
	s_addc_u32 s3, s15, s11
	v_and_b32_e32 v38, 15, v0
	s_waitcnt lgkmcnt(0)
	v_cmp_gt_u64_e32 vcc, s[0:1], v[40:41]
	v_cmp_le_u64_e64 s[0:1], s[0:1], v[40:41]
                                        ; implicit-def: $vgpr42
                                        ; implicit-def: $vgpr44
                                        ; implicit-def: $vgpr48
                                        ; implicit-def: $vgpr52
                                        ; implicit-def: $vgpr54
                                        ; implicit-def: $vgpr46
                                        ; implicit-def: $vgpr56
                                        ; implicit-def: $vgpr50
                                        ; implicit-def: $vgpr58
	s_and_saveexec_b64 s[14:15], s[0:1]
	s_xor_b64 s[0:1], exec, s[14:15]
	s_cbranch_execz .LBB0_11
; %bb.10:
	v_and_b32_e32 v38, 15, v0
	v_mov_b32_e32 v39, 0
	v_or_b32_e32 v42, 16, v38
	v_or_b32_e32 v44, 0x50, v38
	;; [unrolled: 1-line block ×9, first 2 shown]
	v_mov_b32_e32 v43, v39
	v_mov_b32_e32 v53, v39
	;; [unrolled: 1-line block ×9, first 2 shown]
                                        ; implicit-def: $vgpr2_vgpr3
.LBB0_11:
	s_or_saveexec_b64 s[0:1], s[0:1]
	v_mul_u32_u24_e32 v0, 0x141, v1
	v_lshlrev_b32_e32 v66, 3, v0
	s_xor_b64 exec, exec, s[0:1]
	s_cbranch_execz .LBB0_13
; %bb.12:
	s_add_u32 s10, s12, s10
	s_addc_u32 s11, s13, s11
	s_load_dwordx2 s[10:11], s[10:11], 0x0
	v_mov_b32_e32 v39, 0
	v_or_b32_e32 v42, 16, v38
	v_or_b32_e32 v52, 32, v38
	;; [unrolled: 1-line block ×3, first 2 shown]
	s_waitcnt lgkmcnt(0)
	v_mul_lo_u32 v4, s11, v40
	v_mul_lo_u32 v5, s10, v41
	v_mad_u64_u32 v[0:1], s[10:11], s10, v40, 0
	v_add3_u32 v1, v1, v5, v4
	v_lshl_add_u64 v[0:1], v[0:1], 3, s[4:5]
	v_lshl_add_u64 v[0:1], v[2:3], 3, v[0:1]
	v_lshlrev_b32_e32 v2, 3, v38
	v_mov_b32_e32 v3, v39
	v_lshl_add_u64 v[0:1], v[0:1], 0, v[2:3]
	global_load_dwordx2 v[4:5], v[0:1], off
	global_load_dwordx2 v[6:7], v[0:1], off offset:128
	global_load_dwordx2 v[8:9], v[0:1], off offset:256
	;; [unrolled: 1-line block ×19, first 2 shown]
	v_or_b32_e32 v50, 64, v38
	v_or_b32_e32 v44, 0x50, v38
	v_or_b32_e32 v48, 0x60, v38
	v_or_b32_e32 v54, 0x70, v38
	v_or_b32_e32 v56, 0x80, v38
	v_or_b32_e32 v58, 0x90, v38
	v_add3_u32 v0, 0, v66, v2
	v_mov_b32_e32 v43, v39
	v_mov_b32_e32 v53, v39
	v_mov_b32_e32 v47, v39
	v_mov_b32_e32 v51, v39
	v_mov_b32_e32 v45, v39
	v_mov_b32_e32 v49, v39
	v_mov_b32_e32 v55, v39
	v_mov_b32_e32 v57, v39
	v_mov_b32_e32 v59, v39
	v_add_u32_e32 v1, 0x800, v0
	s_waitcnt vmcnt(18)
	ds_write2_b64 v0, v[4:5], v[6:7] offset1:16
	s_waitcnt vmcnt(16)
	ds_write2_b64 v0, v[8:9], v[10:11] offset0:32 offset1:48
	s_waitcnt vmcnt(14)
	ds_write2_b64 v0, v[12:13], v[14:15] offset0:64 offset1:80
	;; [unrolled: 2-line block ×7, first 2 shown]
	s_waitcnt vmcnt(2)
	ds_write2_b64 v1, v[60:61], v[62:63] offset1:16
	s_waitcnt vmcnt(0)
	ds_write2_b64 v1, v[64:65], v[68:69] offset0:32 offset1:48
.LBB0_13:
	s_or_b64 exec, exec, s[0:1]
	v_lshlrev_b32_e32 v64, 3, v38
	v_add_u32_e32 v62, 0, v66
	v_add3_u32 v65, 0, v64, v66
	s_load_dwordx2 s[2:3], s[2:3], 0x0
	s_waitcnt lgkmcnt(0)
	; wave barrier
	s_waitcnt lgkmcnt(0)
	v_add_u32_e32 v63, v62, v64
	ds_read2_b64 v[8:11], v65 offset0:48 offset1:64
	ds_read2_b64 v[0:3], v65 offset0:112 offset1:128
	;; [unrolled: 1-line block ×3, first 2 shown]
	v_add_u32_e32 v67, 0x400, v65
	ds_read_b64 v[70:71], v63
	ds_read2_b64 v[12:15], v67 offset0:112 offset1:128
	ds_read2_b64 v[16:19], v65 offset0:80 offset1:96
	s_mov_b32 s4, 0x3f737871
	s_waitcnt lgkmcnt(4)
	v_pk_add_f32 v[24:25], v[10:11], v[2:3] neg_lo:[0,1] neg_hi:[0,1]
	s_waitcnt lgkmcnt(3)
	v_pk_add_f32 v[20:21], v[2:3], v[6:7]
	s_waitcnt lgkmcnt(1)
	v_pk_add_f32 v[72:73], v[10:11], v[14:15] neg_lo:[0,1] neg_hi:[0,1]
	v_pk_add_f32 v[26:27], v[14:15], v[6:7] neg_lo:[0,1] neg_hi:[0,1]
	ds_read_b64 v[60:61], v65 offset:2432
	v_pk_fma_f32 v[20:21], v[20:21], 0.5, v[70:71] op_sel_hi:[1,0,1] neg_lo:[1,0,0] neg_hi:[1,0,0]
	v_pk_mul_f32 v[22:23], v[72:73], s[4:5] op_sel_hi:[1,0]
	v_pk_add_f32 v[74:75], v[2:3], v[6:7] neg_lo:[0,1] neg_hi:[0,1]
	s_mov_b32 s0, 0x3f167918
	v_pk_add_f32 v[76:77], v[24:25], v[26:27]
	v_add_u32_e32 v68, 0x800, v65
	ds_read2_b64 v[32:35], v65 offset0:144 offset1:160
	ds_read2_b64 v[24:27], v65 offset0:208 offset1:224
	;; [unrolled: 1-line block ×3, first 2 shown]
	v_pk_add_f32 v[78:79], v[20:21], v[22:23] op_sel:[0,1] op_sel_hi:[1,0] neg_lo:[0,1] neg_hi:[0,1]
	v_pk_add_f32 v[20:21], v[20:21], v[22:23] op_sel:[0,1] op_sel_hi:[1,0]
	v_pk_mul_f32 v[22:23], v[74:75], s[0:1] op_sel_hi:[1,0]
	s_waitcnt lgkmcnt(2)
	v_pk_add_f32 v[82:83], v[18:19], v[34:35] neg_lo:[0,1] neg_hi:[0,1]
	v_pk_add_f32 v[80:81], v[20:21], v[22:23] op_sel:[0,1] op_sel_hi:[1,0]
	v_pk_add_f32 v[78:79], v[78:79], v[22:23] op_sel:[0,1] op_sel_hi:[1,0] neg_lo:[0,1] neg_hi:[0,1]
	ds_read2_b64 v[20:23], v65 offset0:16 offset1:32
	s_waitcnt lgkmcnt(1)
	v_pk_add_f32 v[84:85], v[30:31], v[26:27] neg_lo:[0,1] neg_hi:[0,1]
	v_pk_add_f32 v[86:87], v[18:19], v[30:31] neg_lo:[0,1] neg_hi:[0,1]
	v_pk_add_f32 v[82:83], v[82:83], v[84:85]
	v_pk_add_f32 v[84:85], v[34:35], v[26:27]
	v_pk_mul_f32 v[88:89], v[86:87], s[4:5] op_sel_hi:[1,0]
	s_waitcnt lgkmcnt(0)
	v_pk_fma_f32 v[84:85], v[84:85], 0.5, v[22:23] op_sel_hi:[1,0,1] neg_lo:[1,0,0] neg_hi:[1,0,0]
	s_mov_b32 s10, 0x3e9e377a
	v_pk_add_f32 v[90:91], v[84:85], v[88:89] op_sel:[0,1] op_sel_hi:[1,0]
	v_pk_add_f32 v[84:85], v[84:85], v[88:89] op_sel:[0,1] op_sel_hi:[1,0] neg_lo:[0,1] neg_hi:[0,1]
	v_pk_add_f32 v[88:89], v[34:35], v[26:27] neg_lo:[0,1] neg_hi:[0,1]
	s_mov_b32 s12, 0x3f4f1bbd
	v_pk_mul_f32 v[92:93], v[88:89], s[0:1] op_sel_hi:[1,0]
	v_mul_u32_u24_e32 v69, 10, v38
	v_pk_add_f32 v[90:91], v[92:93], v[90:91] op_sel:[1,0] op_sel_hi:[0,1]
	v_pk_add_f32 v[84:85], v[84:85], v[92:93] op_sel:[0,1] op_sel_hi:[1,0] neg_lo:[0,1] neg_hi:[0,1]
	v_mov_b32_e32 v92, v78
	v_mov_b32_e32 v93, v81
	v_pk_fma_f32 v[92:93], v[76:77], s[10:11], v[92:93] op_sel_hi:[1,0,1]
	v_pk_fma_f32 v[94:95], v[82:83], s[10:11], v[90:91] op_sel_hi:[1,0,1]
	s_mov_b32 s11, s0
	v_mov_b32_e32 v90, v84
	v_pk_fma_f32 v[90:91], v[82:83], s[10:11], v[90:91] op_sel_hi:[1,0,1]
	v_lshl_add_u32 v69, v69, 3, v62
	v_pk_mul_f32 v[96:97], v[90:91], s[0:1] op_sel_hi:[1,0]
	s_nop 0
	v_pk_fma_f32 v[98:99], v[90:91], s[12:13], v[96:97] op_sel:[0,0,1] op_sel_hi:[1,0,0] neg_lo:[0,0,1] neg_hi:[0,0,1]
	v_pk_fma_f32 v[90:91], v[90:91], s[12:13], v[96:97] op_sel:[0,0,1] op_sel_hi:[1,0,0]
	v_pk_add_f32 v[96:97], v[22:23], v[18:19]
	v_mov_b32_e32 v99, v91
	v_pk_add_f32 v[90:91], v[70:71], v[10:11]
	v_pk_add_f32 v[96:97], v[96:97], v[34:35]
	;; [unrolled: 1-line block ×9, first 2 shown]
	; wave barrier
	ds_write2_b64 v69, v[100:101], v[102:103] offset1:1
	v_mov_b32_e32 v100, v34
	v_mov_b32_e32 v101, v26
	;; [unrolled: 1-line block ×4, first 2 shown]
	v_pk_add_f32 v[100:101], v[100:101], v[102:103] neg_lo:[0,1] neg_hi:[0,1]
	v_mov_b32_e32 v34, v19
	v_mov_b32_e32 v26, v101
	v_pk_add_f32 v[100:101], v[100:101], v[26:27]
	v_mov_b32_e32 v26, v35
	v_mov_b32_e32 v35, v31
	v_pk_add_f32 v[26:27], v[26:27], v[34:35] neg_lo:[0,1] neg_hi:[0,1]
	v_pk_add_f32 v[18:19], v[18:19], v[30:31]
	v_mov_b32_e32 v34, v27
	v_pk_add_f32 v[26:27], v[26:27], v[34:35]
	v_fma_f32 v34, -0.5, v18, v22
	v_fma_f32 v35, -0.5, v19, v23
	v_pk_add_f32 v[18:19], v[10:11], v[14:15]
	v_pk_add_f32 v[2:3], v[2:3], v[10:11] neg_lo:[0,1] neg_hi:[0,1]
	v_pk_add_f32 v[6:7], v[6:7], v[14:15] neg_lo:[0,1] neg_hi:[0,1]
	v_pk_fma_f32 v[18:19], v[18:19], 0.5, v[70:71] op_sel_hi:[1,0,1] neg_lo:[1,0,0] neg_hi:[1,0,0]
	v_pk_add_f32 v[2:3], v[2:3], v[6:7]
	v_pk_mul_f32 v[6:7], v[74:75], s[4:5] op_sel_hi:[1,0]
	v_mov_b32_e32 v101, v87
	v_pk_add_f32 v[10:11], v[18:19], v[6:7] op_sel:[0,1] op_sel_hi:[1,0]
	v_pk_add_f32 v[6:7], v[18:19], v[6:7] op_sel:[0,1] op_sel_hi:[1,0] neg_lo:[0,1] neg_hi:[0,1]
	v_pk_mul_f32 v[14:15], v[72:73], s[0:1] op_sel_hi:[1,0]
	v_mov_b32_e32 v27, v86
	v_fmamk_f32 v22, v89, 0x3f737871, v34
	v_fmac_f32_e32 v34, 0xbf737871, v89
	v_pk_add_f32 v[6:7], v[6:7], v[14:15] op_sel:[0,1] op_sel_hi:[1,0]
	v_pk_add_f32 v[10:11], v[10:11], v[14:15] op_sel:[0,1] op_sel_hi:[1,0] neg_lo:[0,1] neg_hi:[0,1]
	v_pk_mul_f32 v[14:15], v[100:101], s[10:11]
	v_fmamk_f32 v23, v88, 0xbf737871, v35
	v_fmac_f32_e32 v35, 0x3f737871, v88
	v_sub_f32_e32 v30, v22, v15
	v_pk_mul_f32 v[18:19], v[26:27], s[10:11]
	v_add_f32_e32 v15, v15, v34
	v_add_f32_e32 v22, v19, v23
	;; [unrolled: 1-line block ×4, first 2 shown]
	v_sub_f32_e32 v15, v35, v19
	s_mov_b32 s5, s10
	v_add_f32_e32 v22, v18, v22
	v_add_f32_e32 v18, v18, v15
	s_mov_b32 s14, s10
	s_mov_b32 s15, s4
	v_pk_mul_f32 v[22:23], v[22:23], s[4:5] op_sel_hi:[0,1]
	s_mov_b32 s16, 0xbe9e377a
	s_mov_b32 s17, s4
	v_pk_mul_f32 v[18:19], v[18:19], s[4:5] op_sel_hi:[0,1]
	v_pk_fma_f32 v[30:31], v[26:27], s[14:15], v[22:23] neg_lo:[0,0,1] neg_hi:[0,0,1]
	v_pk_fma_f32 v[22:23], v[26:27], s[14:15], v[22:23] op_sel_hi:[0,1,1]
	v_pk_fma_f32 v[14:15], v[14:15], s[16:17], v[18:19] op_sel_hi:[0,1,1] neg_lo:[0,0,1] neg_hi:[0,0,1]
	v_mov_b32_e32 v18, v10
	v_mov_b32_e32 v19, v7
	;; [unrolled: 1-line block ×4, first 2 shown]
	v_pk_fma_f32 v[10:11], v[2:3], s[10:11], v[18:19] op_sel_hi:[1,0,1]
	v_pk_fma_f32 v[2:3], v[2:3], s[10:11], v[6:7] op_sel_hi:[1,0,1]
	v_pk_add_f32 v[6:7], v[10:11], v[30:31]
	v_pk_add_f32 v[18:19], v[2:3], v[14:15]
	ds_write2_b64 v69, v[6:7], v[18:19] offset0:2 offset1:3
	v_pk_fma_f32 v[6:7], v[82:83], s[10:11], v[84:85] op_sel_hi:[1,0,1]
	s_mov_b32 s1, s12
	v_mov_b32_e32 v81, v79
	s_mov_b32 s18, 0xbf4f1bbd
	s_mov_b32 s19, s0
	v_pk_mul_f32 v[6:7], v[6:7], s[0:1] op_sel:[1,0]
	v_pk_fma_f32 v[18:19], v[76:77], s[10:11], v[80:81] op_sel_hi:[1,0,1]
	v_pk_fma_f32 v[6:7], v[94:95], s[18:19], v[6:7] op_sel_hi:[0,1,1] neg_lo:[0,0,1] neg_hi:[0,0,1]
	v_pk_add_f32 v[26:27], v[18:19], v[6:7]
	v_pk_add_f32 v[2:3], v[2:3], v[14:15] neg_lo:[0,1] neg_hi:[0,1]
	v_pk_add_f32 v[6:7], v[18:19], v[6:7] neg_lo:[0,1] neg_hi:[0,1]
	ds_write2_b64 v69, v[2:3], v[6:7] offset0:8 offset1:9
	v_pk_add_f32 v[2:3], v[20:21], v[16:17]
	v_pk_add_f32 v[22:23], v[90:91], v[96:97] neg_lo:[0,1] neg_hi:[0,1]
	v_pk_add_f32 v[2:3], v[2:3], v[32:33]
	ds_write2_b64 v69, v[26:27], v[22:23] offset0:4 offset1:5
	v_pk_add_f32 v[22:23], v[92:93], v[98:99] neg_lo:[0,1] neg_hi:[0,1]
	v_pk_add_f32 v[10:11], v[10:11], v[30:31] neg_lo:[0,1] neg_hi:[0,1]
	v_pk_add_f32 v[2:3], v[2:3], v[24:25]
	ds_write2_b64 v69, v[22:23], v[10:11] offset0:6 offset1:7
	v_pk_add_f32 v[6:7], v[32:33], v[24:25]
	v_pk_add_f32 v[14:15], v[32:33], v[24:25] neg_lo:[0,1] neg_hi:[0,1]
	v_pk_add_f32 v[10:11], v[16:17], v[32:33] neg_lo:[0,1] neg_hi:[0,1]
	;; [unrolled: 1-line block ×4, first 2 shown]
	v_pk_add_f32 v[16:17], v[16:17], v[28:29]
	v_pk_add_f32 v[26:27], v[28:29], v[24:25] neg_lo:[0,1] neg_hi:[0,1]
	v_pk_add_f32 v[24:25], v[24:25], v[28:29] neg_lo:[0,1] neg_hi:[0,1]
	v_pk_add_f32 v[2:3], v[2:3], v[28:29]
	v_pk_add_f32 v[28:29], v[0:1], v[60:61]
	;; [unrolled: 1-line block ×3, first 2 shown]
	v_fma_f32 v69, -0.5, v28, v8
	v_fma_f32 v82, -0.5, v29, v9
	v_pk_add_f32 v[28:29], v[4:5], v[12:13]
	v_pk_fma_f32 v[6:7], v[6:7], 0.5, v[20:21] op_sel_hi:[1,0,1] neg_lo:[1,0,0] neg_hi:[1,0,0]
	v_pk_fma_f32 v[28:29], v[28:29], 0.5, v[8:9] op_sel_hi:[1,0,1] neg_lo:[1,0,0] neg_hi:[1,0,0]
	v_pk_add_f32 v[8:9], v[8:9], v[0:1]
	v_pk_mul_f32 v[10:11], v[22:23], s[4:5] op_sel_hi:[1,0]
	v_pk_add_f32 v[8:9], v[8:9], v[4:5]
	v_pk_add_f32 v[30:31], v[6:7], v[10:11] op_sel:[0,1] op_sel_hi:[1,0] neg_lo:[0,1] neg_hi:[0,1]
	v_pk_add_f32 v[6:7], v[6:7], v[10:11] op_sel:[0,1] op_sel_hi:[1,0]
	v_pk_mul_f32 v[10:11], v[14:15], s[0:1] op_sel_hi:[1,0]
	v_mov_b32_e32 v32, v4
	v_pk_add_f32 v[6:7], v[6:7], v[10:11] op_sel:[0,1] op_sel_hi:[1,0]
	v_pk_add_f32 v[30:31], v[30:31], v[10:11] op_sel:[0,1] op_sel_hi:[1,0] neg_lo:[0,1] neg_hi:[0,1]
	v_mov_b32_e32 v34, v5
	v_pk_add_f32 v[70:71], v[4:5], v[12:13] neg_lo:[0,1] neg_hi:[0,1]
	v_pk_add_f32 v[4:5], v[0:1], v[4:5] neg_lo:[0,1] neg_hi:[0,1]
	v_mov_b32_e32 v33, v12
	v_pk_add_f32 v[8:9], v[8:9], v[12:13]
	v_mov_b32_e32 v35, v13
	v_pk_add_f32 v[10:11], v[60:61], v[12:13] neg_lo:[0,1] neg_hi:[0,1]
	v_pk_add_f32 v[12:13], v[0:1], v[60:61] neg_lo:[0,1] neg_hi:[0,1]
	v_pk_add_f32 v[4:5], v[4:5], v[10:11]
	v_pk_mul_f32 v[10:11], v[12:13], s[4:5] op_sel_hi:[1,0]
	v_pk_fma_f32 v[16:17], v[16:17], 0.5, v[20:21] op_sel_hi:[1,0,1] neg_lo:[1,0,0] neg_hi:[1,0,0]
	v_pk_add_f32 v[72:73], v[28:29], v[10:11] op_sel:[0,1] op_sel_hi:[1,0]
	v_pk_add_f32 v[10:11], v[28:29], v[10:11] op_sel:[0,1] op_sel_hi:[1,0] neg_lo:[0,1] neg_hi:[0,1]
	v_pk_mul_f32 v[28:29], v[70:71], s[0:1] op_sel_hi:[1,0]
	v_mov_b32_e32 v20, v0
	v_pk_add_f32 v[72:73], v[28:29], v[72:73] op_sel:[1,0] op_sel_hi:[0,1]
	v_pk_add_f32 v[28:29], v[10:11], v[28:29] op_sel:[0,1] op_sel_hi:[1,0] neg_lo:[0,1] neg_hi:[0,1]
	v_mov_b32_e32 v21, v60
	v_pk_fma_f32 v[74:75], v[4:5], s[10:11], v[72:73] op_sel_hi:[1,0,1]
	v_mov_b32_e32 v72, v28
	v_pk_add_f32 v[20:21], v[32:33], v[20:21] neg_lo:[0,1] neg_hi:[0,1]
	v_pk_fma_f32 v[10:11], v[4:5], s[10:11], v[72:73] op_sel_hi:[1,0,1]
	v_pk_add_f32 v[8:9], v[8:9], v[60:61]
	v_mov_b32_e32 v0, v21
	v_mov_b32_e32 v60, v1
	v_pk_mul_f32 v[72:73], v[10:11], s[0:1] op_sel_hi:[1,0]
	v_pk_add_f32 v[20:21], v[20:21], v[0:1]
	v_pk_add_f32 v[0:1], v[34:35], v[60:61] neg_lo:[0,1] neg_hi:[0,1]
	v_pk_fma_f32 v[76:77], v[10:11], s[12:13], v[72:73] op_sel:[0,0,1] op_sel_hi:[1,0,0] neg_lo:[0,0,1] neg_hi:[0,0,1]
	v_pk_fma_f32 v[10:11], v[10:11], s[12:13], v[72:73] op_sel:[0,0,1] op_sel_hi:[1,0,0]
	v_mov_b32_e32 v72, v30
	v_mov_b32_e32 v30, v1
	v_pk_add_f32 v[0:1], v[0:1], v[30:31]
	v_pk_mul_f32 v[14:15], v[14:15], s[4:5] op_sel_hi:[1,0]
	v_mov_b32_e32 v1, v12
	v_mov_b32_e32 v77, v11
	v_mov_b32_e32 v21, v13
	v_fmamk_f32 v11, v70, 0xbf737871, v82
	v_pk_add_f32 v[12:13], v[18:19], v[24:25]
	v_pk_add_f32 v[18:19], v[16:17], v[14:15] op_sel:[0,1] op_sel_hi:[1,0]
	v_pk_add_f32 v[14:15], v[16:17], v[14:15] op_sel:[0,1] op_sel_hi:[1,0] neg_lo:[0,1] neg_hi:[0,1]
	v_pk_mul_f32 v[16:17], v[22:23], s[0:1] op_sel_hi:[1,0]
	v_pk_mul_f32 v[0:1], v[0:1], s[10:11]
	v_mov_b32_e32 v73, v7
	v_fmamk_f32 v7, v71, 0x3f737871, v69
	v_pk_add_f32 v[14:15], v[14:15], v[16:17] op_sel:[0,1] op_sel_hi:[1,0]
	v_pk_add_f32 v[16:17], v[18:19], v[16:17] op_sel:[0,1] op_sel_hi:[1,0] neg_lo:[0,1] neg_hi:[0,1]
	v_pk_mul_f32 v[18:19], v[20:21], s[10:11]
	v_add_f32_e32 v11, v1, v11
	v_fmac_f32_e32 v82, 0x3f737871, v70
	v_sub_f32_e32 v7, v7, v19
	v_add_f32_e32 v20, v0, v11
	v_fmac_f32_e32 v69, 0xbf737871, v71
	v_pk_mul_f32 v[20:21], v[20:21], s[4:5] op_sel_hi:[0,1]
	v_add_f32_e32 v22, v18, v7
	v_sub_f32_e32 v1, v82, v1
	v_pk_fma_f32 v[24:25], v[22:23], s[14:15], v[20:21] neg_lo:[0,0,1] neg_hi:[0,0,1]
	v_pk_fma_f32 v[20:21], v[22:23], s[14:15], v[20:21] op_sel_hi:[0,1,1]
	v_add_f32_e32 v7, v19, v69
	v_add_f32_e32 v0, v0, v1
	v_pk_fma_f32 v[4:5], v[4:5], s[10:11], v[28:29] op_sel_hi:[1,0,1]
	v_add_f32_e32 v18, v18, v7
	v_mov_b32_e32 v25, v21
	v_mov_b32_e32 v20, v16
	;; [unrolled: 1-line block ×3, first 2 shown]
	v_pk_mul_f32 v[0:1], v[0:1], s[4:5] op_sel_hi:[0,1]
	v_mov_b32_e32 v15, v17
	v_mul_i32_i24_e32 v10, 10, v42
	v_pk_fma_f32 v[20:21], v[12:13], s[10:11], v[20:21] op_sel_hi:[1,0,1]
	v_pk_fma_f32 v[0:1], v[18:19], s[16:17], v[0:1] op_sel_hi:[0,1,1] neg_lo:[0,0,1] neg_hi:[0,0,1]
	v_pk_fma_f32 v[12:13], v[12:13], s[10:11], v[14:15] op_sel_hi:[1,0,1]
	v_mov_b32_e32 v7, v31
	v_pk_mul_f32 v[4:5], v[4:5], s[0:1] op_sel:[1,0]
	v_lshl_add_u32 v10, v10, 3, v62
	v_pk_add_f32 v[18:19], v[20:21], v[24:25]
	v_pk_add_f32 v[14:15], v[12:13], v[0:1]
	v_pk_fma_f32 v[6:7], v[26:27], s[10:11], v[6:7] op_sel_hi:[1,0,1]
	v_pk_fma_f32 v[4:5], v[74:75], s[18:19], v[4:5] op_sel_hi:[0,1,1] neg_lo:[0,0,1] neg_hi:[0,0,1]
	v_pk_fma_f32 v[72:73], v[26:27], s[10:11], v[72:73] op_sel_hi:[1,0,1]
	v_pk_add_f32 v[78:79], v[2:3], v[8:9]
	ds_write2_b64 v10, v[18:19], v[14:15] offset0:2 offset1:3
	v_pk_add_f32 v[14:15], v[6:7], v[4:5]
	v_pk_add_f32 v[2:3], v[2:3], v[8:9] neg_lo:[0,1] neg_hi:[0,1]
	ds_write2_b64 v10, v[14:15], v[2:3] offset0:4 offset1:5
	v_pk_add_f32 v[2:3], v[72:73], v[76:77] neg_lo:[0,1] neg_hi:[0,1]
	v_pk_add_f32 v[8:9], v[20:21], v[24:25] neg_lo:[0,1] neg_hi:[0,1]
	ds_write2_b64 v10, v[2:3], v[8:9] offset0:6 offset1:7
	v_pk_add_f32 v[0:1], v[12:13], v[0:1] neg_lo:[0,1] neg_hi:[0,1]
	v_pk_add_f32 v[2:3], v[6:7], v[4:5] neg_lo:[0,1] neg_hi:[0,1]
	s_movk_i32 s0, 0xcd
	ds_write2_b64 v10, v[0:1], v[2:3] offset0:8 offset1:9
	v_mul_lo_u16_sdwa v1, v50, s0 dst_sel:DWORD dst_unused:UNUSED_PAD src0_sel:BYTE_0 src1_sel:DWORD
	v_lshrrev_b16_e32 v117, 11, v1
	v_mul_lo_u16_e32 v1, 10, v117
	v_mov_b32_e32 v69, 3
	v_mul_lo_u16_sdwa v0, v46, s0 dst_sel:DWORD dst_unused:UNUSED_PAD src0_sel:BYTE_0 src1_sel:DWORD
	v_sub_u16_e32 v118, v50, v1
	v_lshrrev_b16_e32 v116, 11, v0
	v_mul_u32_u24_sdwa v1, v118, v69 dst_sel:DWORD dst_unused:UNUSED_PAD src0_sel:BYTE_0 src1_sel:DWORD
	v_pk_add_f32 v[80:81], v[72:73], v[76:77]
	v_mul_lo_u16_e32 v0, 10, v116
	v_lshlrev_b32_e32 v11, 3, v1
	ds_write2_b64 v10, v[78:79], v[80:81] offset1:1
	s_waitcnt lgkmcnt(0)
	; wave barrier
	s_waitcnt lgkmcnt(0)
	global_load_dwordx2 v[8:9], v11, s[8:9] offset:16
	v_sub_u16_e32 v119, v46, v0
	v_mul_u32_u24_sdwa v0, v119, v69 dst_sel:DWORD dst_unused:UNUSED_PAD src0_sel:BYTE_0 src1_sel:DWORD
	v_lshlrev_b32_e32 v4, 3, v0
	global_load_dwordx2 v[6:7], v4, s[8:9] offset:16
	global_load_dwordx4 v[0:3], v4, s[8:9]
	v_mul_lo_u16_sdwa v4, v52, s0 dst_sel:DWORD dst_unused:UNUSED_PAD src0_sel:BYTE_0 src1_sel:DWORD
	v_lshrrev_b16_e32 v120, 11, v4
	v_mul_lo_u16_e32 v4, 10, v120
	v_sub_u16_e32 v121, v52, v4
	v_mul_u32_u24_sdwa v4, v121, v69 dst_sel:DWORD dst_unused:UNUSED_PAD src0_sel:BYTE_0 src1_sel:DWORD
	v_lshlrev_b32_e32 v4, 3, v4
	global_load_dwordx4 v[12:15], v4, s[8:9]
	global_load_dwordx2 v[20:21], v4, s[8:9] offset:16
	v_mul_lo_u16_sdwa v4, v42, s0 dst_sel:DWORD dst_unused:UNUSED_PAD src0_sel:BYTE_0 src1_sel:DWORD
	v_lshrrev_b16_e32 v122, 11, v4
	v_mul_lo_u16_e32 v4, 10, v122
	v_sub_u16_e32 v123, v42, v4
	v_mul_u32_u24_sdwa v4, v123, v69 dst_sel:DWORD dst_unused:UNUSED_PAD src0_sel:BYTE_0 src1_sel:DWORD
	v_lshlrev_b32_e32 v4, 3, v4
	global_load_dwordx2 v[34:35], v4, s[8:9] offset:16
	global_load_dwordx4 v[16:19], v4, s[8:9]
	v_add_u32_e32 v4, -10, v38
	v_cmp_gt_u32_e64 s[0:1], 10, v38
	v_mov_b32_e32 v5, 0
	s_nop 0
	v_cndmask_b32_e64 v124, v4, v38, s[0:1]
	v_mul_i32_i24_e32 v4, 3, v124
	v_lshl_add_u64 v[26:27], v[4:5], 3, s[8:9]
	global_load_dwordx4 v[22:25], v[26:27], off
	global_load_dwordx4 v[70:73], v11, s[8:9]
	global_load_dwordx2 v[60:61], v[26:27], off offset:16
	ds_read2_b64 v[28:31], v68 offset0:32 offset1:48
	v_lshl_add_u32 v26, v56, 3, v62
	s_movk_i32 s0, 0xffb8
	v_lshl_add_u32 v27, v58, 3, v62
	s_waitcnt vmcnt(9) lgkmcnt(0)
	v_pk_mul_f32 v[32:33], v[30:31], v[8:9] op_sel:[0,1]
	s_nop 0
	v_pk_fma_f32 v[74:75], v[30:31], v[8:9], v[32:33] op_sel:[0,0,1] op_sel_hi:[1,1,0]
	v_pk_fma_f32 v[76:77], v[30:31], v[8:9], v[32:33] op_sel:[0,0,1] op_sel_hi:[1,0,0] neg_lo:[0,0,1] neg_hi:[0,0,1]
	ds_read_b64 v[32:33], v26
	s_waitcnt vmcnt(8)
	v_pk_mul_f32 v[8:9], v[28:29], v[6:7] op_sel:[0,1]
	v_lshl_add_u32 v31, v46, 3, v62
	ds_read_b64 v[82:83], v31
	v_pk_fma_f32 v[78:79], v[28:29], v[6:7], v[8:9] op_sel:[0,0,1] op_sel_hi:[1,1,0]
	v_pk_fma_f32 v[80:81], v[28:29], v[6:7], v[8:9] op_sel:[0,0,1] op_sel_hi:[1,0,0] neg_lo:[0,0,1] neg_hi:[0,0,1]
	ds_read2_b64 v[6:9], v65 offset0:192 offset1:208
	s_waitcnt vmcnt(7) lgkmcnt(2)
	v_pk_mul_f32 v[28:29], v[32:33], v[0:1] op_sel:[0,1]
	v_lshl_add_u32 v30, v44, 3, v62
	v_pk_fma_f32 v[84:85], v[32:33], v[0:1], v[28:29] op_sel:[0,0,1] op_sel_hi:[1,1,0]
	v_pk_fma_f32 v[86:87], v[32:33], v[0:1], v[28:29] op_sel:[0,0,1] op_sel_hi:[1,0,0] neg_lo:[0,0,1] neg_hi:[0,0,1]
	v_mov_b32_e32 v0, v3
	s_waitcnt lgkmcnt(0)
	v_pk_mul_f32 v[0:1], v[8:9], v[0:1] op_sel_hi:[1,0]
	v_lshl_add_u32 v28, v54, 3, v62
	v_pk_fma_f32 v[88:89], v[8:9], v[2:3], v[0:1] op_sel:[0,0,1] op_sel_hi:[1,1,0]
	v_pk_fma_f32 v[8:9], v[8:9], v[2:3], v[0:1] op_sel:[0,0,1] op_sel_hi:[1,0,0] neg_lo:[0,0,1] neg_hi:[0,0,1]
	s_waitcnt vmcnt(6)
	v_mov_b32_e32 v0, v15
	v_pk_mul_f32 v[32:33], v[6:7], v[0:1] op_sel_hi:[1,0]
	ds_read_b64 v[92:93], v28
	ds_read2_b64 v[0:3], v68 offset1:16
	v_pk_fma_f32 v[90:91], v[6:7], v[14:15], v[32:33] op_sel:[0,0,1] op_sel_hi:[1,1,0]
	v_pk_fma_f32 v[6:7], v[6:7], v[14:15], v[32:33] op_sel:[0,0,1] op_sel_hi:[1,0,0] neg_lo:[0,0,1] neg_hi:[0,0,1]
	v_lshl_add_u32 v33, v52, 3, v62
	s_waitcnt lgkmcnt(1)
	v_pk_mul_f32 v[94:95], v[92:93], v[12:13] op_sel:[0,1]
	v_lshl_add_u32 v29, v48, 3, v62
	v_pk_fma_f32 v[96:97], v[92:93], v[12:13], v[94:95] op_sel:[0,0,1] op_sel_hi:[1,1,0]
	v_pk_fma_f32 v[12:13], v[92:93], v[12:13], v[94:95] op_sel:[0,0,1] op_sel_hi:[1,0,0] neg_lo:[0,0,1] neg_hi:[0,0,1]
	s_waitcnt vmcnt(5) lgkmcnt(0)
	v_pk_mul_f32 v[92:93], v[2:3], v[20:21] op_sel:[0,1]
	ds_read_b64 v[14:15], v33
	v_pk_fma_f32 v[94:95], v[2:3], v[20:21], v[92:93] op_sel:[0,0,1] op_sel_hi:[1,1,0]
	v_pk_fma_f32 v[20:21], v[2:3], v[20:21], v[92:93] op_sel:[0,0,1] op_sel_hi:[1,0,0] neg_lo:[0,0,1] neg_hi:[0,0,1]
	s_waitcnt vmcnt(4)
	v_pk_mul_f32 v[2:3], v[0:1], v[34:35] op_sel:[0,1]
	s_waitcnt vmcnt(3)
	v_mov_b32_e32 v4, v19
	v_pk_fma_f32 v[92:93], v[0:1], v[34:35], v[2:3] op_sel:[0,0,1] op_sel_hi:[1,1,0]
	v_pk_fma_f32 v[34:35], v[0:1], v[34:35], v[2:3] op_sel:[0,0,1] op_sel_hi:[1,0,0] neg_lo:[0,0,1] neg_hi:[0,0,1]
	ds_read_b64 v[98:99], v29
	ds_read2_b64 v[0:3], v65 offset0:160 offset1:176
	v_mad_i32_i24 v20, v42, s0, v10
	ds_read_b64 v[10:11], v20
	ds_read_b64 v[106:107], v63
	;; [unrolled: 1-line block ×3, first 2 shown]
	s_waitcnt lgkmcnt(4)
	v_pk_mul_f32 v[100:101], v[98:99], v[16:17] op_sel:[0,1]
	v_cmp_lt_u32_e64 s[0:1], 9, v38
	v_pk_fma_f32 v[102:103], v[98:99], v[16:17], v[100:101] op_sel:[0,0,1] op_sel_hi:[1,1,0]
	v_pk_fma_f32 v[16:17], v[98:99], v[16:17], v[100:101] op_sel:[0,0,1] op_sel_hi:[1,0,0] neg_lo:[0,0,1] neg_hi:[0,0,1]
	s_waitcnt lgkmcnt(3)
	v_pk_mul_f32 v[98:99], v[2:3], v[4:5] op_sel_hi:[1,0]
	s_waitcnt vmcnt(1) lgkmcnt(0)
	v_pk_mul_f32 v[112:113], v[110:111], v[70:71] op_sel:[0,1]
	v_pk_fma_f32 v[100:101], v[2:3], v[18:19], v[98:99] op_sel:[0,0,1] op_sel_hi:[1,1,0]
	v_pk_fma_f32 v[18:19], v[2:3], v[18:19], v[98:99] op_sel:[0,0,1] op_sel_hi:[1,0,0] neg_lo:[0,0,1] neg_hi:[0,0,1]
	ds_read_b64 v[98:99], v30
	v_mov_b32_e32 v2, v25
	v_pk_mul_f32 v[2:3], v[0:1], v[2:3] op_sel_hi:[1,0]
	v_mov_b32_e32 v4, v73
	v_pk_fma_f32 v[104:105], v[0:1], v[24:25], v[2:3] op_sel:[0,0,1] op_sel_hi:[1,1,0]
	v_pk_fma_f32 v[24:25], v[0:1], v[24:25], v[2:3] op_sel:[0,0,1] op_sel_hi:[1,0,0] neg_lo:[0,0,1] neg_hi:[0,0,1]
	s_waitcnt lgkmcnt(0)
	v_pk_mul_f32 v[0:1], v[22:23], v[98:99] op_sel:[0,1]
	v_pk_fma_f32 v[114:115], v[110:111], v[70:71], v[112:113] op_sel:[0,0,1] op_sel_hi:[1,1,0]
	v_pk_fma_f32 v[108:109], v[22:23], v[98:99], v[0:1] op_sel:[0,0,1] op_sel_hi:[1,1,0]
	v_pk_fma_f32 v[22:23], v[22:23], v[98:99], v[0:1] op_sel:[0,0,1] op_sel_hi:[1,0,0] neg_lo:[1,0,0] neg_hi:[1,0,0]
	ds_read2_b64 v[0:3], v65 offset0:224 offset1:240
	v_pk_fma_f32 v[70:71], v[110:111], v[70:71], v[112:113] op_sel:[0,0,1] op_sel_hi:[1,0,0] neg_lo:[0,0,1] neg_hi:[0,0,1]
	v_mov_b32_e32 v109, v23
	v_mov_b32_e32 v105, v25
	v_lshl_add_u32 v32, v50, 3, v62
	s_waitcnt lgkmcnt(0)
	v_pk_mul_f32 v[110:111], v[0:1], v[4:5] op_sel_hi:[1,0]
	v_lshlrev_b32_e32 v4, 3, v124
	v_pk_fma_f32 v[112:113], v[0:1], v[72:73], v[110:111] op_sel:[0,0,1] op_sel_hi:[1,1,0]
	v_pk_fma_f32 v[0:1], v[0:1], v[72:73], v[110:111] op_sel:[0,0,1] op_sel_hi:[1,0,0] neg_lo:[0,0,1] neg_hi:[0,0,1]
	s_waitcnt vmcnt(0)
	v_pk_mul_f32 v[72:73], v[2:3], v[60:61] op_sel:[0,1]
	v_mov_b32_e32 v0, 0x140
	v_pk_fma_f32 v[110:111], v[2:3], v[60:61], v[72:73] op_sel:[0,0,1] op_sel_hi:[1,1,0]
	v_pk_fma_f32 v[2:3], v[2:3], v[60:61], v[72:73] op_sel:[0,0,1] op_sel_hi:[1,0,0] neg_lo:[0,0,1] neg_hi:[0,0,1]
	v_cndmask_b32_e64 v0, 0, v0, s[0:1]
	v_mov_b32_e32 v111, v3
	v_pk_add_f32 v[2:3], v[106:107], v[104:105] neg_lo:[0,1] neg_hi:[0,1]
	v_pk_add_f32 v[22:23], v[108:109], v[110:111] neg_lo:[0,1] neg_hi:[0,1]
	v_add_u32_e32 v0, 0, v0
	v_pk_fma_f32 v[24:25], v[108:109], 2.0, v[22:23] op_sel_hi:[1,0,1] neg_lo:[0,0,1] neg_hi:[0,0,1]
	v_pk_add_f32 v[60:61], v[2:3], v[22:23] op_sel:[0,1] op_sel_hi:[1,0]
	v_pk_add_f32 v[22:23], v[2:3], v[22:23] op_sel:[0,1] op_sel_hi:[1,0] neg_lo:[0,1] neg_hi:[0,1]
	v_add3_u32 v0, v0, v4, v66
	v_mov_b32_e32 v61, v23
	v_pk_fma_f32 v[22:23], v[106:107], 2.0, v[2:3] op_sel_hi:[1,0,1] neg_lo:[0,0,1] neg_hi:[0,0,1]
	v_pk_fma_f32 v[2:3], v[2:3], 2.0, v[60:61] op_sel_hi:[1,0,1] neg_lo:[0,0,1] neg_hi:[0,0,1]
	v_pk_add_f32 v[24:25], v[22:23], v[24:25] neg_lo:[0,1] neg_hi:[0,1]
	v_mov_b32_e32 v103, v17
	v_pk_fma_f32 v[22:23], v[22:23], 2.0, v[24:25] op_sel_hi:[1,0,1] neg_lo:[0,0,1] neg_hi:[0,0,1]
	v_mov_b32_e32 v101, v19
	v_mov_b32_e32 v93, v35
	ds_read_b64 v[98:99], v32
	s_waitcnt lgkmcnt(0)
	; wave barrier
	s_waitcnt lgkmcnt(0)
	ds_write2_b64 v0, v[22:23], v[2:3] offset1:10
	ds_write2_b64 v0, v[24:25], v[60:61] offset0:20 offset1:30
	v_pk_add_f32 v[2:3], v[10:11], v[100:101] neg_lo:[0,1] neg_hi:[0,1]
	v_pk_add_f32 v[16:17], v[102:103], v[92:93] neg_lo:[0,1] neg_hi:[0,1]
	s_movk_i32 s0, 0x140
	v_pk_fma_f32 v[18:19], v[102:103], 2.0, v[16:17] op_sel_hi:[1,0,1] neg_lo:[0,0,1] neg_hi:[0,0,1]
	v_pk_add_f32 v[22:23], v[2:3], v[16:17] op_sel:[0,1] op_sel_hi:[1,0]
	v_pk_add_f32 v[16:17], v[2:3], v[16:17] op_sel:[0,1] op_sel_hi:[1,0] neg_lo:[0,1] neg_hi:[0,1]
	v_pk_fma_f32 v[10:11], v[10:11], 2.0, v[2:3] op_sel_hi:[1,0,1] neg_lo:[0,0,1] neg_hi:[0,0,1]
	v_mov_b32_e32 v23, v17
	v_mad_u32_u24 v0, v122, s0, 0
	v_lshlrev_b32_sdwa v4, v69, v123 dst_sel:DWORD dst_unused:UNUSED_PAD src0_sel:DWORD src1_sel:BYTE_0
	v_pk_add_f32 v[16:17], v[10:11], v[18:19] neg_lo:[0,1] neg_hi:[0,1]
	v_add3_u32 v0, v0, v4, v66
	v_pk_fma_f32 v[10:11], v[10:11], 2.0, v[16:17] op_sel_hi:[1,0,1] neg_lo:[0,0,1] neg_hi:[0,0,1]
	v_pk_fma_f32 v[2:3], v[2:3], 2.0, v[22:23] op_sel_hi:[1,0,1] neg_lo:[0,0,1] neg_hi:[0,0,1]
	v_mov_b32_e32 v97, v13
	v_mov_b32_e32 v91, v7
	;; [unrolled: 1-line block ×3, first 2 shown]
	ds_write2_b64 v0, v[10:11], v[2:3] offset1:10
	ds_write2_b64 v0, v[16:17], v[22:23] offset0:20 offset1:30
	v_pk_add_f32 v[2:3], v[14:15], v[90:91] neg_lo:[0,1] neg_hi:[0,1]
	v_pk_add_f32 v[6:7], v[96:97], v[94:95] neg_lo:[0,1] neg_hi:[0,1]
	v_mad_u32_u24 v0, v120, s0, 0
	v_pk_fma_f32 v[10:11], v[96:97], 2.0, v[6:7] op_sel_hi:[1,0,1] neg_lo:[0,0,1] neg_hi:[0,0,1]
	v_pk_add_f32 v[12:13], v[2:3], v[6:7] op_sel:[0,1] op_sel_hi:[1,0]
	v_pk_add_f32 v[6:7], v[2:3], v[6:7] op_sel:[0,1] op_sel_hi:[1,0] neg_lo:[0,1] neg_hi:[0,1]
	v_lshlrev_b32_sdwa v4, v69, v121 dst_sel:DWORD dst_unused:UNUSED_PAD src0_sel:DWORD src1_sel:BYTE_0
	v_mov_b32_e32 v13, v7
	v_pk_fma_f32 v[6:7], v[14:15], 2.0, v[2:3] op_sel_hi:[1,0,1] neg_lo:[0,0,1] neg_hi:[0,0,1]
	v_mov_b32_e32 v85, v87
	v_pk_add_f32 v[10:11], v[6:7], v[10:11] neg_lo:[0,1] neg_hi:[0,1]
	v_mov_b32_e32 v89, v9
	v_mov_b32_e32 v79, v81
	v_add3_u32 v0, v0, v4, v66
	v_pk_fma_f32 v[6:7], v[6:7], 2.0, v[10:11] op_sel_hi:[1,0,1] neg_lo:[0,0,1] neg_hi:[0,0,1]
	v_pk_fma_f32 v[2:3], v[2:3], 2.0, v[12:13] op_sel_hi:[1,0,1] neg_lo:[0,0,1] neg_hi:[0,0,1]
	v_pk_add_f32 v[8:9], v[82:83], v[88:89] neg_lo:[0,1] neg_hi:[0,1]
	v_pk_add_f32 v[14:15], v[84:85], v[78:79] neg_lo:[0,1] neg_hi:[0,1]
	ds_write2_b64 v0, v[6:7], v[2:3] offset1:10
	ds_write2_b64 v0, v[10:11], v[12:13] offset0:20 offset1:30
	v_mov_b32_e32 v113, v1
	v_mad_u32_u24 v0, v116, s0, 0
	v_lshlrev_b32_sdwa v1, v69, v119 dst_sel:DWORD dst_unused:UNUSED_PAD src0_sel:DWORD src1_sel:BYTE_0
	v_pk_fma_f32 v[12:13], v[82:83], 2.0, v[8:9] op_sel_hi:[1,0,1] neg_lo:[0,0,1] neg_hi:[0,0,1]
	v_pk_fma_f32 v[16:17], v[84:85], 2.0, v[14:15] op_sel_hi:[1,0,1] neg_lo:[0,0,1] neg_hi:[0,0,1]
	v_pk_add_f32 v[18:19], v[8:9], v[14:15] op_sel:[0,1] op_sel_hi:[1,0]
	v_pk_add_f32 v[14:15], v[8:9], v[14:15] op_sel:[0,1] op_sel_hi:[1,0] neg_lo:[0,1] neg_hi:[0,1]
	v_mov_b32_e32 v115, v71
	v_mov_b32_e32 v75, v77
	v_add3_u32 v4, v0, v1, v66
	v_lshlrev_b32_sdwa v0, v69, v118 dst_sel:DWORD dst_unused:UNUSED_PAD src0_sel:DWORD src1_sel:BYTE_0
	v_mad_u32_u24 v1, v117, s0, 0
	v_pk_add_f32 v[16:17], v[12:13], v[16:17] neg_lo:[0,1] neg_hi:[0,1]
	v_mov_b32_e32 v19, v15
	v_add3_u32 v21, v1, v0, v66
	v_pk_add_f32 v[0:1], v[98:99], v[112:113] neg_lo:[0,1] neg_hi:[0,1]
	v_pk_add_f32 v[6:7], v[114:115], v[74:75] neg_lo:[0,1] neg_hi:[0,1]
	v_pk_fma_f32 v[12:13], v[12:13], 2.0, v[16:17] op_sel_hi:[1,0,1] neg_lo:[0,0,1] neg_hi:[0,0,1]
	v_pk_fma_f32 v[8:9], v[8:9], 2.0, v[18:19] op_sel_hi:[1,0,1] neg_lo:[0,0,1] neg_hi:[0,0,1]
	;; [unrolled: 1-line block ×4, first 2 shown]
	ds_write2_b64 v4, v[12:13], v[8:9] offset1:10
	ds_write2_b64 v4, v[16:17], v[18:19] offset0:20 offset1:30
	v_pk_add_f32 v[8:9], v[0:1], v[6:7] op_sel:[0,1] op_sel_hi:[1,0]
	v_pk_add_f32 v[6:7], v[0:1], v[6:7] op_sel:[0,1] op_sel_hi:[1,0] neg_lo:[0,1] neg_hi:[0,1]
	v_pk_add_f32 v[10:11], v[2:3], v[10:11] neg_lo:[0,1] neg_hi:[0,1]
	v_mov_b32_e32 v9, v7
	v_mul_i32_i24_e32 v4, 3, v42
	v_pk_fma_f32 v[2:3], v[2:3], 2.0, v[10:11] op_sel_hi:[1,0,1] neg_lo:[0,0,1] neg_hi:[0,0,1]
	v_pk_fma_f32 v[0:1], v[0:1], 2.0, v[8:9] op_sel_hi:[1,0,1] neg_lo:[0,0,1] neg_hi:[0,0,1]
	v_lshl_add_u64 v[6:7], v[4:5], 3, s[8:9]
	ds_write2_b64 v21, v[2:3], v[0:1] offset1:10
	ds_write2_b64 v21, v[10:11], v[8:9] offset0:20 offset1:30
	s_waitcnt lgkmcnt(0)
	; wave barrier
	s_waitcnt lgkmcnt(0)
	global_load_dwordx4 v[0:3], v[6:7], off offset:240
	v_mul_u32_u24_e32 v4, 3, v38
	v_lshlrev_b32_e32 v21, 3, v4
	global_load_dwordx4 v[8:11], v21, s[8:9] offset:240
	global_load_dwordx2 v[34:35], v21, s[8:9] offset:448
	global_load_dwordx2 v[60:61], v21, s[8:9] offset:832
	global_load_dwordx4 v[12:15], v21, s[8:9] offset:432
	v_add_u32_e32 v4, -8, v38
	v_cmp_gt_u32_e64 s[0:1], 40, v52
	s_nop 1
	v_cndmask_b32_e64 v69, v4, v52, s[0:1]
	v_mul_i32_i24_e32 v4, 3, v69
	v_lshl_add_u64 v[4:5], v[4:5], 3, s[8:9]
	global_load_dwordx4 v[16:19], v[4:5], off offset:240
	global_load_dwordx2 v[70:71], v[4:5], off offset:256
	global_load_dwordx2 v[72:73], v[6:7], off offset:256
	global_load_dwordx4 v[22:25], v21, s[8:9] offset:816
	global_load_dwordx2 v[74:75], v21, s[8:9] offset:256
	ds_read_b64 v[76:77], v29
	ds_read2_b64 v[4:7], v65 offset0:160 offset1:176
	ds_read_b64 v[78:79], v20
	ds_read_b64 v[84:85], v30
	v_cmp_lt_u32_e64 s[0:1], 39, v52
	s_waitcnt lgkmcnt(3)
	v_mov_b32_e32 v80, v77
	s_waitcnt vmcnt(9)
	v_pk_mul_f32 v[82:83], v[0:1], v[76:77] op_sel_hi:[1,0]
	s_nop 0
	v_pk_fma_f32 v[80:81], v[0:1], v[80:81], v[82:83] op_sel:[0,0,1] op_sel_hi:[1,1,0] neg_lo:[0,0,1] neg_hi:[0,0,1]
	v_pk_fma_f32 v[76:77], v[0:1], v[76:77], v[82:83] op_sel:[0,1,1] op_sel_hi:[1,1,0]
	v_mov_b32_e32 v0, v3
	s_waitcnt lgkmcnt(2)
	v_pk_mul_f32 v[0:1], v[6:7], v[0:1] op_sel_hi:[1,0]
	s_waitcnt vmcnt(8) lgkmcnt(0)
	v_pk_mul_f32 v[88:89], v[8:9], v[84:85] op_sel_hi:[1,0]
	v_pk_fma_f32 v[82:83], v[6:7], v[2:3], v[0:1] op_sel:[0,0,1] op_sel_hi:[1,1,0]
	v_pk_fma_f32 v[6:7], v[6:7], v[2:3], v[0:1] op_sel:[0,0,1] op_sel_hi:[1,0,0] neg_lo:[0,0,1] neg_hi:[0,0,1]
	v_pk_mul_f32 v[0:1], v[10:11], v[4:5] op_sel:[0,1]
	v_mov_b32_e32 v81, v77
	v_pk_fma_f32 v[86:87], v[10:11], v[4:5], v[0:1] op_sel:[0,0,1] op_sel_hi:[1,1,0]
	v_pk_fma_f32 v[4:5], v[10:11], v[4:5], v[0:1] op_sel:[0,0,1] op_sel_hi:[1,0,0] neg_lo:[1,0,0] neg_hi:[1,0,0]
	ds_read2_b64 v[0:3], v68 offset0:32 offset1:48
	ds_read_b64 v[10:11], v63
	v_mov_b32_e32 v4, v85
	v_pk_fma_f32 v[90:91], v[8:9], v[4:5], v[88:89] op_sel:[0,0,1] op_sel_hi:[1,1,0] neg_lo:[0,0,1] neg_hi:[0,0,1]
	v_pk_fma_f32 v[8:9], v[8:9], v[84:85], v[88:89] op_sel:[0,1,1] op_sel_hi:[1,1,0]
	s_waitcnt vmcnt(7) lgkmcnt(1)
	v_pk_mul_f32 v[84:85], v[0:1], v[34:35] op_sel:[0,1]
	s_waitcnt vmcnt(5)
	v_mov_b32_e32 v4, v15
	v_pk_fma_f32 v[88:89], v[0:1], v[34:35], v[84:85] op_sel:[0,0,1] op_sel_hi:[1,1,0]
	v_pk_fma_f32 v[34:35], v[0:1], v[34:35], v[84:85] op_sel:[0,0,1] op_sel_hi:[1,0,0] neg_lo:[0,0,1] neg_hi:[0,0,1]
	ds_read_b64 v[84:85], v26
	v_pk_mul_f32 v[0:1], v[2:3], v[60:61] op_sel:[0,1]
	v_mov_b32_e32 v91, v9
	v_pk_fma_f32 v[92:93], v[2:3], v[60:61], v[0:1] op_sel:[0,0,1] op_sel_hi:[1,1,0]
	v_pk_fma_f32 v[60:61], v[2:3], v[60:61], v[0:1] op_sel:[0,0,1] op_sel_hi:[1,0,0] neg_lo:[0,0,1] neg_hi:[0,0,1]
	ds_read2_b64 v[0:3], v65 offset0:192 offset1:208
	ds_read_b64 v[94:95], v31
	s_waitcnt lgkmcnt(2)
	v_pk_mul_f32 v[96:97], v[84:85], v[12:13] op_sel:[0,1]
	v_mov_b32_e32 v87, v5
	v_pk_fma_f32 v[98:99], v[84:85], v[12:13], v[96:97] op_sel:[0,0,1] op_sel_hi:[1,1,0]
	v_pk_fma_f32 v[12:13], v[84:85], v[12:13], v[96:97] op_sel:[0,0,1] op_sel_hi:[1,0,0] neg_lo:[0,0,1] neg_hi:[0,0,1]
	s_waitcnt lgkmcnt(1)
	v_pk_mul_f32 v[84:85], v[2:3], v[4:5] op_sel_hi:[1,0]
	s_waitcnt vmcnt(1)
	v_mov_b32_e32 v4, v25
	v_pk_fma_f32 v[96:97], v[2:3], v[14:15], v[84:85] op_sel:[0,0,1] op_sel_hi:[1,1,0]
	v_pk_fma_f32 v[14:15], v[2:3], v[14:15], v[84:85] op_sel:[0,0,1] op_sel_hi:[1,0,0] neg_lo:[0,0,1] neg_hi:[0,0,1]
	v_mov_b32_e32 v2, v19
	ds_read_b64 v[84:85], v28
	v_pk_mul_f32 v[2:3], v[0:1], v[2:3] op_sel_hi:[1,0]
	v_mov_b32_e32 v83, v7
	v_pk_fma_f32 v[100:101], v[0:1], v[18:19], v[2:3] op_sel:[0,0,1] op_sel_hi:[1,1,0]
	v_pk_fma_f32 v[18:19], v[0:1], v[18:19], v[2:3] op_sel:[0,0,1] op_sel_hi:[1,0,0] neg_lo:[0,0,1] neg_hi:[0,0,1]
	ds_read2_b64 v[0:3], v68 offset1:16
	ds_read_b64 v[102:103], v33
	s_waitcnt lgkmcnt(2)
	v_pk_mul_f32 v[104:105], v[84:85], v[16:17] op_sel:[0,1]
	ds_read_b64 v[108:109], v27
	v_pk_fma_f32 v[106:107], v[84:85], v[16:17], v[104:105] op_sel:[0,0,1] op_sel_hi:[1,1,0]
	v_pk_fma_f32 v[16:17], v[84:85], v[16:17], v[104:105] op_sel:[0,0,1] op_sel_hi:[1,0,0] neg_lo:[0,0,1] neg_hi:[0,0,1]
	s_waitcnt lgkmcnt(2)
	v_pk_mul_f32 v[84:85], v[2:3], v[70:71] op_sel:[0,1]
	v_mov_b32_e32 v107, v17
	v_pk_fma_f32 v[104:105], v[2:3], v[70:71], v[84:85] op_sel:[0,0,1] op_sel_hi:[1,1,0]
	v_pk_fma_f32 v[70:71], v[2:3], v[70:71], v[84:85] op_sel:[0,0,1] op_sel_hi:[1,0,0] neg_lo:[0,0,1] neg_hi:[0,0,1]
	v_mov_b32_e32 v2, v1
	v_pk_mul_f32 v[84:85], v[0:1], v[72:73] op_sel_hi:[0,1]
	v_pk_fma_f32 v[110:111], v[0:1], v[72:73], v[84:85] op_sel:[1,0,1] op_sel_hi:[1,1,0]
	v_pk_fma_f32 v[72:73], v[2:3], v[72:73], v[84:85] op_sel:[0,0,1] op_sel_hi:[1,1,0] neg_lo:[0,0,1] neg_hi:[0,0,1]
	ds_read2_b64 v[0:3], v65 offset0:224 offset1:240
	ds_read_b64 v[84:85], v32
	s_waitcnt lgkmcnt(2)
	v_pk_mul_f32 v[112:113], v[108:109], v[22:23] op_sel:[0,1]
	v_mov_b32_e32 v73, v111
	v_pk_fma_f32 v[114:115], v[108:109], v[22:23], v[112:113] op_sel:[0,0,1] op_sel_hi:[1,1,0]
	v_pk_fma_f32 v[22:23], v[108:109], v[22:23], v[112:113] op_sel:[0,0,1] op_sel_hi:[1,0,0] neg_lo:[0,0,1] neg_hi:[0,0,1]
	s_waitcnt lgkmcnt(1)
	v_pk_mul_f32 v[108:109], v[0:1], v[4:5] op_sel_hi:[1,0]
	s_waitcnt lgkmcnt(0)
	v_pk_fma_f32 v[112:113], v[0:1], v[24:25], v[108:109] op_sel:[0,0,1] op_sel_hi:[1,1,0]
	v_pk_fma_f32 v[0:1], v[0:1], v[24:25], v[108:109] op_sel:[0,0,1] op_sel_hi:[1,0,0] neg_lo:[0,0,1] neg_hi:[0,0,1]
	s_waitcnt vmcnt(0)
	v_pk_mul_f32 v[24:25], v[74:75], v[2:3] op_sel_hi:[1,0]
	v_mov_b32_e32 v0, v3
	v_pk_fma_f32 v[2:3], v[74:75], v[2:3], v[24:25] op_sel:[0,1,1] op_sel_hi:[1,1,0]
	v_pk_fma_f32 v[24:25], v[74:75], v[0:1], v[24:25] op_sel:[0,0,1] op_sel_hi:[1,1,0] neg_lo:[0,0,1] neg_hi:[0,0,1]
	; wave barrier
	s_nop 0
	v_mov_b32_e32 v25, v3
	v_pk_add_f32 v[2:3], v[10:11], v[86:87] neg_lo:[0,1] neg_hi:[0,1]
	v_pk_add_f32 v[4:5], v[90:91], v[24:25] neg_lo:[0,1] neg_hi:[0,1]
	v_pk_fma_f32 v[10:11], v[10:11], 2.0, v[2:3] op_sel_hi:[1,0,1] neg_lo:[0,0,1] neg_hi:[0,0,1]
	v_pk_add_f32 v[8:9], v[2:3], v[4:5]
	v_pk_add_f32 v[24:25], v[2:3], v[4:5] neg_lo:[0,1] neg_hi:[0,1]
	v_pk_fma_f32 v[4:5], v[90:91], 2.0, v[4:5] op_sel_hi:[1,0,1] neg_lo:[0,0,1] neg_hi:[0,0,1]
	v_mov_b32_e32 v9, v25
	v_pk_add_f32 v[4:5], v[10:11], v[4:5] op_sel:[0,1] op_sel_hi:[1,0] neg_lo:[0,1] neg_hi:[0,1]
	v_pk_fma_f32 v[2:3], v[2:3], 2.0, v[8:9] op_sel_hi:[1,0,1] neg_lo:[0,0,1] neg_hi:[0,0,1]
	v_pk_fma_f32 v[10:11], v[10:11], 2.0, v[4:5] op_sel_hi:[1,0,1] neg_lo:[0,0,1] neg_hi:[0,0,1]
	ds_write2_b64 v65, v[10:11], v[2:3] offset1:40
	ds_write2_b64 v65, v[4:5], v[8:9] offset0:80 offset1:120
	v_pk_add_f32 v[2:3], v[78:79], v[82:83] neg_lo:[0,1] neg_hi:[0,1]
	v_pk_add_f32 v[4:5], v[80:81], v[72:73] neg_lo:[0,1] neg_hi:[0,1]
	v_mov_b32_e32 v0, 0x500
	v_pk_add_f32 v[6:7], v[2:3], v[4:5]
	v_pk_add_f32 v[8:9], v[2:3], v[4:5] neg_lo:[0,1] neg_hi:[0,1]
	v_pk_fma_f32 v[4:5], v[80:81], 2.0, v[4:5] op_sel_hi:[1,0,1] neg_lo:[0,0,1] neg_hi:[0,0,1]
	v_mov_b32_e32 v7, v9
	v_pk_fma_f32 v[8:9], v[78:79], 2.0, v[2:3] op_sel_hi:[1,0,1] neg_lo:[0,0,1] neg_hi:[0,0,1]
	v_pk_fma_f32 v[2:3], v[2:3], 2.0, v[6:7] op_sel_hi:[1,0,1] neg_lo:[0,0,1] neg_hi:[0,0,1]
	v_pk_add_f32 v[4:5], v[8:9], v[4:5] op_sel:[0,1] op_sel_hi:[1,0] neg_lo:[0,1] neg_hi:[0,1]
	v_cndmask_b32_e64 v0, 0, v0, s[0:1]
	v_pk_fma_f32 v[8:9], v[8:9], 2.0, v[4:5] op_sel_hi:[1,0,1] neg_lo:[0,0,1] neg_hi:[0,0,1]
	ds_write2_b64 v20, v[8:9], v[2:3] offset1:40
	ds_write2_b64 v20, v[4:5], v[6:7] offset0:80 offset1:120
	v_add_u32_e32 v0, 0, v0
	v_lshlrev_b32_e32 v2, 3, v69
	v_mov_b32_e32 v101, v19
	v_mov_b32_e32 v105, v71
	v_add3_u32 v21, v0, v2, v66
	v_mov_b32_e32 v113, v1
	v_pk_add_f32 v[0:1], v[102:103], v[100:101] neg_lo:[0,1] neg_hi:[0,1]
	v_pk_add_f32 v[2:3], v[106:107], v[104:105] neg_lo:[0,1] neg_hi:[0,1]
	v_pk_fma_f32 v[24:25], v[102:103], 2.0, v[0:1] op_sel_hi:[1,0,1] neg_lo:[0,0,1] neg_hi:[0,0,1]
	v_pk_fma_f32 v[4:5], v[106:107], 2.0, v[2:3] op_sel_hi:[1,0,1] neg_lo:[0,0,1] neg_hi:[0,0,1]
	v_pk_add_f32 v[6:7], v[0:1], v[2:3] op_sel:[0,1] op_sel_hi:[1,0]
	v_pk_add_f32 v[2:3], v[0:1], v[2:3] op_sel:[0,1] op_sel_hi:[1,0] neg_lo:[0,1] neg_hi:[0,1]
	v_mov_b32_e32 v99, v13
	v_mov_b32_e32 v97, v15
	;; [unrolled: 1-line block ×4, first 2 shown]
	v_pk_add_f32 v[4:5], v[24:25], v[4:5] neg_lo:[0,1] neg_hi:[0,1]
	v_mov_b32_e32 v115, v23
	v_mov_b32_e32 v93, v61
	v_pk_add_f32 v[2:3], v[94:95], v[96:97] neg_lo:[0,1] neg_hi:[0,1]
	v_pk_add_f32 v[10:11], v[98:99], v[88:89] neg_lo:[0,1] neg_hi:[0,1]
	v_pk_fma_f32 v[24:25], v[24:25], 2.0, v[4:5] op_sel_hi:[1,0,1] neg_lo:[0,0,1] neg_hi:[0,0,1]
	v_pk_fma_f32 v[0:1], v[0:1], 2.0, v[6:7] op_sel_hi:[1,0,1] neg_lo:[0,0,1] neg_hi:[0,0,1]
	v_pk_add_f32 v[14:15], v[84:85], v[112:113] neg_lo:[0,1] neg_hi:[0,1]
	v_pk_add_f32 v[18:19], v[114:115], v[92:93] neg_lo:[0,1] neg_hi:[0,1]
	ds_write2_b64 v21, v[24:25], v[0:1] offset1:40
	ds_write2_b64 v21, v[4:5], v[6:7] offset0:80 offset1:120
	v_pk_add_f32 v[0:1], v[2:3], v[10:11] op_sel:[0,1] op_sel_hi:[1,0]
	v_pk_add_f32 v[4:5], v[2:3], v[10:11] op_sel:[0,1] op_sel_hi:[1,0] neg_lo:[0,1] neg_hi:[0,1]
	v_pk_fma_f32 v[8:9], v[94:95], 2.0, v[2:3] op_sel_hi:[1,0,1] neg_lo:[0,0,1] neg_hi:[0,0,1]
	v_pk_fma_f32 v[12:13], v[98:99], 2.0, v[10:11] op_sel_hi:[1,0,1] neg_lo:[0,0,1] neg_hi:[0,0,1]
	;; [unrolled: 1-line block ×4, first 2 shown]
	v_mov_b32_e32 v1, v5
	v_pk_add_f32 v[4:5], v[14:15], v[18:19] op_sel:[0,1] op_sel_hi:[1,0]
	v_pk_add_f32 v[6:7], v[14:15], v[18:19] op_sel:[0,1] op_sel_hi:[1,0] neg_lo:[0,1] neg_hi:[0,1]
	v_pk_add_f32 v[12:13], v[8:9], v[12:13] neg_lo:[0,1] neg_hi:[0,1]
	v_pk_add_f32 v[22:23], v[16:17], v[22:23] neg_lo:[0,1] neg_hi:[0,1]
	v_mov_b32_e32 v5, v7
	v_pk_fma_f32 v[8:9], v[8:9], 2.0, v[12:13] op_sel_hi:[1,0,1] neg_lo:[0,0,1] neg_hi:[0,0,1]
	v_pk_fma_f32 v[16:17], v[16:17], 2.0, v[22:23] op_sel_hi:[1,0,1] neg_lo:[0,0,1] neg_hi:[0,0,1]
	;; [unrolled: 1-line block ×4, first 2 shown]
	ds_write2_b64 v65, v[8:9], v[16:17] offset0:168 offset1:184
	ds_write2_b64 v65, v[2:3], v[6:7] offset0:208 offset1:224
	;; [unrolled: 1-line block ×4, first 2 shown]
	v_lshl_add_u64 v[4:5], v[42:43], 3, s[8:9]
	s_waitcnt lgkmcnt(0)
	; wave barrier
	s_waitcnt lgkmcnt(0)
	global_load_dwordx2 v[34:35], v[4:5], off offset:1200
	v_lshl_add_u64 v[12:13], v[52:53], 3, s[8:9]
	v_lshl_add_u64 v[18:19], v[38:39], 3, s[8:9]
	global_load_dwordx2 v[52:53], v[12:13], off offset:1200
	global_load_dwordx2 v[60:61], v[18:19], off offset:1200
	v_lshl_add_u64 v[0:1], v[58:59], 3, s[8:9]
	global_load_dwordx2 v[58:59], v[0:1], off offset:1200
	v_lshl_add_u64 v[2:3], v[56:57], 3, s[8:9]
	;; [unrolled: 2-line block ×7, first 2 shown]
	global_load_dwordx2 v[70:71], v[16:17], off offset:1200
	ds_read2_b64 v[22:25], v65 offset0:160 offset1:176
	ds_read2_b64 v[44:47], v68 offset0:32 offset1:48
	v_cmp_ne_u32_e64 s[0:1], 0, v38
	s_waitcnt vmcnt(9) lgkmcnt(1)
	v_pk_mul_f32 v[72:73], v[34:35], v[24:25] op_sel:[0,1]
	s_nop 0
	v_pk_fma_f32 v[74:75], v[34:35], v[24:25], v[72:73] op_sel:[0,0,1] op_sel_hi:[1,1,0]
	v_pk_fma_f32 v[34:35], v[34:35], v[24:25], v[72:73] op_sel:[0,0,1] op_sel_hi:[1,0,0] neg_lo:[1,0,0] neg_hi:[1,0,0]
	s_waitcnt vmcnt(7)
	v_pk_mul_f32 v[24:25], v[60:61], v[22:23] op_sel:[0,1]
	v_mov_b32_e32 v75, v35
	v_pk_fma_f32 v[72:73], v[60:61], v[22:23], v[24:25] op_sel:[0,0,1] op_sel_hi:[1,1,0]
	v_pk_fma_f32 v[60:61], v[60:61], v[22:23], v[24:25] op_sel:[0,0,1] op_sel_hi:[1,0,0] neg_lo:[1,0,0] neg_hi:[1,0,0]
	ds_read2_b64 v[22:25], v68 offset1:16
	s_waitcnt vmcnt(6) lgkmcnt(1)
	v_pk_mul_f32 v[76:77], v[46:47], v[58:59] op_sel:[0,1]
	v_mov_b32_e32 v73, v61
	v_pk_fma_f32 v[78:79], v[46:47], v[58:59], v[76:77] op_sel:[0,0,1] op_sel_hi:[1,1,0]
	v_pk_fma_f32 v[58:59], v[46:47], v[58:59], v[76:77] op_sel:[0,0,1] op_sel_hi:[1,0,0] neg_lo:[0,0,1] neg_hi:[0,0,1]
	s_waitcnt vmcnt(5)
	v_pk_mul_f32 v[46:47], v[44:45], v[56:57] op_sel:[0,1]
	s_waitcnt vmcnt(4) lgkmcnt(0)
	v_pk_mul_f32 v[76:77], v[24:25], v[54:55] op_sel:[0,1]
	v_pk_fma_f32 v[68:69], v[44:45], v[56:57], v[46:47] op_sel:[0,0,1] op_sel_hi:[1,1,0]
	v_pk_fma_f32 v[56:57], v[44:45], v[56:57], v[46:47] op_sel:[0,0,1] op_sel_hi:[1,0,0] neg_lo:[0,0,1] neg_hi:[0,0,1]
	ds_read2_b64 v[44:47], v65 offset0:224 offset1:240
	v_pk_fma_f32 v[80:81], v[24:25], v[54:55], v[76:77] op_sel:[0,0,1] op_sel_hi:[1,1,0]
	v_pk_fma_f32 v[54:55], v[24:25], v[54:55], v[76:77] op_sel:[0,0,1] op_sel_hi:[1,0,0] neg_lo:[0,0,1] neg_hi:[0,0,1]
	s_waitcnt vmcnt(3)
	v_pk_mul_f32 v[24:25], v[22:23], v[48:49] op_sel:[0,1]
	v_mov_b32_e32 v79, v59
	v_pk_fma_f32 v[76:77], v[22:23], v[48:49], v[24:25] op_sel:[0,0,1] op_sel_hi:[1,1,0]
	v_pk_fma_f32 v[48:49], v[22:23], v[48:49], v[24:25] op_sel:[0,0,1] op_sel_hi:[1,0,0] neg_lo:[0,0,1] neg_hi:[0,0,1]
	ds_read2_b64 v[22:25], v65 offset0:192 offset1:208
	s_waitcnt vmcnt(2) lgkmcnt(1)
	v_pk_mul_f32 v[82:83], v[46:47], v[66:67] op_sel:[0,1]
	v_mov_b32_e32 v69, v57
	v_pk_fma_f32 v[84:85], v[46:47], v[66:67], v[82:83] op_sel:[0,0,1] op_sel_hi:[1,1,0]
	v_pk_fma_f32 v[46:47], v[46:47], v[66:67], v[82:83] op_sel:[0,0,1] op_sel_hi:[1,0,0] neg_lo:[0,0,1] neg_hi:[0,0,1]
	s_waitcnt vmcnt(1)
	v_pk_mul_f32 v[66:67], v[44:45], v[50:51] op_sel:[0,1]
	v_mov_b32_e32 v81, v55
	v_pk_fma_f32 v[82:83], v[44:45], v[50:51], v[66:67] op_sel:[0,0,1] op_sel_hi:[1,1,0]
	v_pk_fma_f32 v[44:45], v[44:45], v[50:51], v[66:67] op_sel:[0,0,1] op_sel_hi:[1,0,0] neg_lo:[0,0,1] neg_hi:[0,0,1]
	s_waitcnt vmcnt(0) lgkmcnt(0)
	v_pk_mul_f32 v[50:51], v[70:71], v[24:25] op_sel:[0,1]
	v_mov_b32_e32 v83, v45
	v_pk_fma_f32 v[66:67], v[70:71], v[24:25], v[50:51] op_sel:[0,0,1] op_sel_hi:[1,1,0]
	v_pk_fma_f32 v[24:25], v[70:71], v[24:25], v[50:51] op_sel:[0,0,1] op_sel_hi:[1,0,0] neg_lo:[1,0,0] neg_hi:[1,0,0]
	ds_read_b64 v[50:51], v63
	v_pk_mul_f32 v[70:71], v[52:53], v[22:23] op_sel:[0,1]
	v_mov_b32_e32 v67, v25
	v_pk_fma_f32 v[86:87], v[52:53], v[22:23], v[70:71] op_sel:[0,0,1] op_sel_hi:[1,1,0]
	v_pk_fma_f32 v[22:23], v[52:53], v[22:23], v[70:71] op_sel:[0,0,1] op_sel_hi:[1,0,0] neg_lo:[1,0,0] neg_hi:[1,0,0]
	s_waitcnt lgkmcnt(0)
	v_pk_add_f32 v[52:53], v[50:51], v[72:73] neg_lo:[0,1] neg_hi:[0,1]
	ds_read_b64 v[60:61], v27
	ds_read_b64 v[70:71], v28
	;; [unrolled: 1-line block ×9, first 2 shown]
	v_pk_fma_f32 v[50:51], v[50:51], 2.0, v[52:53] op_sel_hi:[1,0,1] neg_lo:[0,0,1] neg_hi:[0,0,1]
	s_waitcnt lgkmcnt(4)
	v_pk_add_f32 v[34:35], v[90:91], v[74:75] neg_lo:[0,1] neg_hi:[0,1]
	s_waitcnt lgkmcnt(0)
	; wave barrier
	s_waitcnt lgkmcnt(0)
	ds_write2_b64 v65, v[50:51], v[52:53] offset1:160
	v_pk_fma_f32 v[50:51], v[90:91], 2.0, v[34:35] op_sel_hi:[1,0,1] neg_lo:[0,0,1] neg_hi:[0,0,1]
	v_mov_b32_e32 v87, v23
	ds_write2_b64 v20, v[50:51], v[34:35] offset1:160
	v_pk_add_f32 v[20:21], v[72:73], v[86:87] neg_lo:[0,1] neg_hi:[0,1]
	v_mov_b32_e32 v77, v49
	v_pk_fma_f32 v[22:23], v[72:73], 2.0, v[20:21] op_sel_hi:[1,0,1] neg_lo:[0,0,1] neg_hi:[0,0,1]
	ds_write2_b64 v33, v[22:23], v[20:21] offset1:160
	v_pk_add_f32 v[20:21], v[98:99], v[66:67] neg_lo:[0,1] neg_hi:[0,1]
	v_mov_b32_e32 v85, v47
	v_pk_fma_f32 v[22:23], v[98:99], 2.0, v[20:21] op_sel_hi:[1,0,1] neg_lo:[0,0,1] neg_hi:[0,0,1]
	v_pk_add_f32 v[56:57], v[94:95], v[82:83] neg_lo:[0,1] neg_hi:[0,1]
	ds_write2_b64 v31, v[22:23], v[20:21] offset1:160
	v_pk_add_f32 v[20:21], v[60:61], v[78:79] neg_lo:[0,1] neg_hi:[0,1]
	v_pk_add_f32 v[24:25], v[96:97], v[68:69] neg_lo:[0,1] neg_hi:[0,1]
	;; [unrolled: 1-line block ×5, first 2 shown]
	v_pk_fma_f32 v[58:59], v[94:95], 2.0, v[56:57] op_sel_hi:[1,0,1] neg_lo:[0,0,1] neg_hi:[0,0,1]
	v_pk_fma_f32 v[22:23], v[60:61], 2.0, v[20:21] op_sel_hi:[1,0,1] neg_lo:[0,0,1] neg_hi:[0,0,1]
	;; [unrolled: 1-line block ×6, first 2 shown]
	ds_write2_b64 v32, v[58:59], v[56:57] offset1:160
	ds_write2_b64 v30, v[54:55], v[52:53] offset1:160
	ds_write2_b64 v29, v[50:51], v[48:49] offset1:160
	ds_write2_b64 v28, v[46:47], v[44:45] offset1:160
	ds_write2_b64 v26, v[34:35], v[24:25] offset1:160
	ds_write2_b64 v27, v[22:23], v[20:21] offset1:160
	s_waitcnt lgkmcnt(0)
	; wave barrier
	s_waitcnt lgkmcnt(0)
	ds_read_b64 v[24:25], v63
	v_sub_u32_e32 v34, v62, v64
                                        ; implicit-def: $vgpr21
                                        ; implicit-def: $vgpr22_vgpr23
	s_and_saveexec_b64 s[4:5], s[0:1]
	s_xor_b64 s[0:1], exec, s[4:5]
	s_cbranch_execz .LBB0_15
; %bb.14:
	global_load_dwordx2 v[18:19], v[18:19], off offset:2480
	ds_read_b64 v[20:21], v34 offset:2560
	v_mov_b32_e32 v23, 0.5
	v_mov_b32_e32 v44, v23
	s_waitcnt lgkmcnt(0)
	v_pk_add_f32 v[46:47], v[20:21], v[24:25]
	v_pk_add_f32 v[20:21], v[24:25], v[20:21] neg_lo:[0,1] neg_hi:[0,1]
	v_mov_b32_e32 v24, v47
	v_mov_b32_e32 v25, v20
	v_pk_mul_f32 v[24:25], v[24:25], 0.5 op_sel_hi:[1,0]
	s_waitcnt vmcnt(0)
	v_mov_b32_e32 v22, v19
	v_mov_b32_e32 v20, v25
	v_mov_b32_e32 v47, v24
	v_mov_b32_e32 v45, v19
	v_pk_mul_f32 v[20:21], v[22:23], v[20:21]
	v_pk_mul_f32 v[48:49], v[18:19], v[24:25] op_sel_hi:[0,1]
	v_pk_fma_f32 v[50:51], v[46:47], v[44:45], v[20:21]
	v_pk_fma_f32 v[22:23], v[46:47], v[44:45], v[20:21] neg_lo:[0,0,1] neg_hi:[0,0,1]
	v_pk_fma_f32 v[20:21], v[18:19], v[24:25], v[50:51] op_sel_hi:[0,1,1] neg_lo:[1,0,0] neg_hi:[1,0,0]
	v_pk_fma_f32 v[22:23], v[18:19], v[24:25], v[22:23] op_sel_hi:[0,1,1] neg_lo:[1,0,0] neg_hi:[1,0,0]
	v_add_f32_e32 v20, v50, v48
                                        ; implicit-def: $vgpr24_vgpr25
.LBB0_15:
	s_andn2_saveexec_b64 s[0:1], s[0:1]
	s_cbranch_execz .LBB0_17
; %bb.16:
	ds_read_b32 v19, v62 offset:1284
	s_waitcnt lgkmcnt(1)
	v_mov_b32_e32 v18, v25
	v_add_f32_e32 v20, v25, v24
	s_waitcnt lgkmcnt(0)
	v_pk_add_f32 v[22:23], v[24:25], v[18:19] neg_lo:[0,1] neg_hi:[0,1]
	s_nop 0
	v_mov_b32_e32 v23, 0
	v_xor_b32_e32 v18, 0x80000000, v19
	v_mov_b32_e32 v21, v23
	ds_write_b32 v62, v18 offset:1284
.LBB0_17:
	s_or_b64 exec, exec, s[0:1]
	global_load_dwordx2 v[18:19], v[4:5], off offset:2480
	s_waitcnt lgkmcnt(0)
	global_load_dwordx2 v[24:25], v[12:13], off offset:2480
	global_load_dwordx2 v[44:45], v[16:17], off offset:2480
	;; [unrolled: 1-line block ×3, first 2 shown]
	ds_write_b64 v63, v[20:21]
	ds_write_b64 v34, v[22:23] offset:2560
	v_lshl_add_u32 v22, v42, 3, v62
	ds_read_b64 v[12:13], v22
	ds_read_b64 v[14:15], v34 offset:2432
	global_load_dwordx2 v[10:11], v[10:11], off offset:2480
	v_mov_b32_e32 v5, 0.5
	v_mov_b32_e32 v16, v5
	s_waitcnt lgkmcnt(0)
	v_pk_add_f32 v[20:21], v[12:13], v[14:15]
	v_pk_add_f32 v[12:13], v[12:13], v[14:15] neg_lo:[0,1] neg_hi:[0,1]
	v_mov_b32_e32 v14, v21
	v_mov_b32_e32 v15, v12
	v_pk_mul_f32 v[14:15], v[14:15], 0.5 op_sel_hi:[1,0]
	s_waitcnt vmcnt(4)
	v_mov_b32_e32 v17, v19
	v_mov_b32_e32 v21, v14
	;; [unrolled: 1-line block ×4, first 2 shown]
	v_pk_mul_f32 v[16:17], v[20:21], v[16:17]
	s_nop 0
	v_pk_fma_f32 v[20:21], v[4:5], v[12:13], v[16:17] neg_lo:[1,0,0] neg_hi:[1,0,0]
	v_pk_fma_f32 v[12:13], v[4:5], v[12:13], v[16:17]
	v_pk_fma_f32 v[16:17], v[18:19], v[14:15], v[20:21] op_sel_hi:[0,1,1] neg_lo:[1,0,0] neg_hi:[1,0,0]
	v_pk_fma_f32 v[20:21], v[18:19], v[14:15], v[12:13] op_sel_hi:[0,1,1]
	v_pk_fma_f32 v[12:13], v[18:19], v[14:15], v[12:13] op_sel_hi:[0,1,1] neg_lo:[1,0,0] neg_hi:[1,0,0]
	v_mov_b32_e32 v21, v13
	ds_write_b64 v22, v[20:21]
	ds_write_b64 v34, v[16:17] offset:2432
	ds_read_b64 v[12:13], v33
	ds_read_b64 v[14:15], v34 offset:2304
	global_load_dwordx2 v[8:9], v[8:9], off offset:2480
	v_mov_b32_e32 v16, v5
	s_waitcnt vmcnt(4)
	v_mov_b32_e32 v17, v25
	v_mov_b32_e32 v4, v25
	s_waitcnt lgkmcnt(0)
	v_pk_add_f32 v[18:19], v[12:13], v[14:15]
	v_pk_add_f32 v[12:13], v[12:13], v[14:15] neg_lo:[0,1] neg_hi:[0,1]
	v_mov_b32_e32 v14, v19
	v_mov_b32_e32 v15, v12
	v_pk_mul_f32 v[14:15], v[14:15], 0.5 op_sel_hi:[1,0]
	s_nop 0
	v_mov_b32_e32 v19, v14
	v_mov_b32_e32 v12, v15
	v_pk_mul_f32 v[16:17], v[18:19], v[16:17]
	s_nop 0
	v_pk_fma_f32 v[18:19], v[4:5], v[12:13], v[16:17] neg_lo:[1,0,0] neg_hi:[1,0,0]
	v_pk_fma_f32 v[12:13], v[4:5], v[12:13], v[16:17]
	v_pk_fma_f32 v[16:17], v[24:25], v[14:15], v[18:19] op_sel_hi:[0,1,1] neg_lo:[1,0,0] neg_hi:[1,0,0]
	v_pk_fma_f32 v[18:19], v[24:25], v[14:15], v[12:13] op_sel_hi:[0,1,1]
	v_pk_fma_f32 v[12:13], v[24:25], v[14:15], v[12:13] op_sel_hi:[0,1,1] neg_lo:[1,0,0] neg_hi:[1,0,0]
	v_mov_b32_e32 v19, v13
	ds_write_b64 v33, v[18:19]
	ds_write_b64 v34, v[16:17] offset:2304
	ds_read_b64 v[12:13], v31
	ds_read_b64 v[14:15], v34 offset:2176
	global_load_dwordx2 v[6:7], v[6:7], off offset:2480
	v_mov_b32_e32 v16, v5
	s_waitcnt vmcnt(4)
	v_mov_b32_e32 v17, v45
	v_mov_b32_e32 v4, v45
	s_waitcnt lgkmcnt(0)
	v_pk_add_f32 v[18:19], v[12:13], v[14:15]
	v_pk_add_f32 v[12:13], v[12:13], v[14:15] neg_lo:[0,1] neg_hi:[0,1]
	v_mov_b32_e32 v14, v19
	v_mov_b32_e32 v15, v12
	v_pk_mul_f32 v[14:15], v[14:15], 0.5 op_sel_hi:[1,0]
	s_nop 0
	v_mov_b32_e32 v19, v14
	v_mov_b32_e32 v12, v15
	;; [unrolled: 26-line block ×4, first 2 shown]
	v_pk_mul_f32 v[16:17], v[18:19], v[16:17]
	s_nop 0
	v_pk_fma_f32 v[18:19], v[4:5], v[12:13], v[16:17] neg_lo:[1,0,0] neg_hi:[1,0,0]
	v_pk_fma_f32 v[12:13], v[4:5], v[12:13], v[16:17]
	v_pk_fma_f32 v[16:17], v[10:11], v[14:15], v[18:19] op_sel_hi:[0,1,1] neg_lo:[1,0,0] neg_hi:[1,0,0]
	v_pk_fma_f32 v[18:19], v[10:11], v[14:15], v[12:13] op_sel_hi:[0,1,1]
	v_pk_fma_f32 v[10:11], v[10:11], v[14:15], v[12:13] op_sel_hi:[0,1,1] neg_lo:[1,0,0] neg_hi:[1,0,0]
	v_mov_b32_e32 v19, v11
	ds_write_b64 v30, v[18:19]
	ds_write_b64 v34, v[16:17] offset:1920
	ds_read_b64 v[10:11], v29
	ds_read_b64 v[12:13], v34 offset:1792
	v_mov_b32_e32 v14, v5
	s_waitcnt vmcnt(3)
	v_mov_b32_e32 v15, v9
	v_mov_b32_e32 v4, v9
	s_waitcnt lgkmcnt(0)
	v_pk_add_f32 v[16:17], v[10:11], v[12:13]
	v_pk_add_f32 v[10:11], v[10:11], v[12:13] neg_lo:[0,1] neg_hi:[0,1]
	v_mov_b32_e32 v12, v17
	v_mov_b32_e32 v13, v10
	v_pk_mul_f32 v[12:13], v[12:13], 0.5 op_sel_hi:[1,0]
	s_nop 0
	v_mov_b32_e32 v17, v12
	v_mov_b32_e32 v10, v13
	v_pk_mul_f32 v[14:15], v[16:17], v[14:15]
	s_nop 0
	v_pk_fma_f32 v[16:17], v[4:5], v[10:11], v[14:15] neg_lo:[1,0,0] neg_hi:[1,0,0]
	v_pk_fma_f32 v[10:11], v[4:5], v[10:11], v[14:15]
	v_pk_fma_f32 v[14:15], v[8:9], v[12:13], v[16:17] op_sel_hi:[0,1,1] neg_lo:[1,0,0] neg_hi:[1,0,0]
	v_pk_fma_f32 v[16:17], v[8:9], v[12:13], v[10:11] op_sel_hi:[0,1,1]
	v_pk_fma_f32 v[8:9], v[8:9], v[12:13], v[10:11] op_sel_hi:[0,1,1] neg_lo:[1,0,0] neg_hi:[1,0,0]
	v_mov_b32_e32 v17, v9
	ds_write_b64 v29, v[16:17]
	ds_write_b64 v34, v[14:15] offset:1792
	ds_read_b64 v[8:9], v28
	ds_read_b64 v[10:11], v34 offset:1664
	v_mov_b32_e32 v12, v5
	s_waitcnt vmcnt(2)
	v_mov_b32_e32 v13, v7
	v_mov_b32_e32 v4, v7
	s_waitcnt lgkmcnt(0)
	v_pk_add_f32 v[14:15], v[8:9], v[10:11]
	v_pk_add_f32 v[8:9], v[8:9], v[10:11] neg_lo:[0,1] neg_hi:[0,1]
	v_mov_b32_e32 v10, v15
	v_mov_b32_e32 v11, v8
	v_pk_mul_f32 v[10:11], v[10:11], 0.5 op_sel_hi:[1,0]
	s_nop 0
	v_mov_b32_e32 v15, v10
	v_mov_b32_e32 v8, v11
	;; [unrolled: 25-line block ×4, first 2 shown]
	v_pk_mul_f32 v[8:9], v[10:11], v[8:9]
	s_nop 0
	v_pk_fma_f32 v[10:11], v[4:5], v[2:3], v[8:9] neg_lo:[1,0,0] neg_hi:[1,0,0]
	v_pk_fma_f32 v[2:3], v[4:5], v[2:3], v[8:9]
	v_pk_fma_f32 v[10:11], v[0:1], v[6:7], v[10:11] op_sel_hi:[0,1,1] neg_lo:[1,0,0] neg_hi:[1,0,0]
	v_pk_fma_f32 v[4:5], v[0:1], v[6:7], v[2:3] op_sel_hi:[0,1,1]
	v_pk_fma_f32 v[0:1], v[0:1], v[6:7], v[2:3] op_sel_hi:[0,1,1] neg_lo:[1,0,0] neg_hi:[1,0,0]
	v_mov_b32_e32 v5, v1
	ds_write_b64 v27, v[4:5]
	ds_write_b64 v34, v[10:11] offset:1408
	s_waitcnt lgkmcnt(0)
	; wave barrier
	s_waitcnt lgkmcnt(0)
	s_and_saveexec_b64 s[0:1], vcc
	s_cbranch_execz .LBB0_20
; %bb.18:
	v_mul_lo_u32 v2, s3, v40
	v_mul_lo_u32 v3, s2, v41
	v_mad_u64_u32 v[0:1], s[0:1], s2, v40, 0
	v_add3_u32 v1, v1, v3, v2
	v_lshl_add_u32 v2, v38, 3, v62
	ds_read2_b64 v[4:7], v2 offset1:16
	v_lshl_add_u64 v[0:1], v[0:1], 3, s[6:7]
	v_mov_b32_e32 v39, 0
	v_lshl_add_u64 v[0:1], v[36:37], 3, v[0:1]
	v_lshl_add_u64 v[8:9], v[38:39], 3, v[0:1]
	s_waitcnt lgkmcnt(0)
	global_store_dwordx2 v[8:9], v[4:5], off
	ds_read2_b64 v[8:11], v2 offset0:32 offset1:48
	v_add_u32_e32 v4, 16, v38
	v_mov_b32_e32 v5, v39
	v_lshl_add_u64 v[4:5], v[4:5], 3, v[0:1]
	global_store_dwordx2 v[4:5], v[6:7], off
	v_add_u32_e32 v4, 32, v38
	v_mov_b32_e32 v5, v39
	v_lshl_add_u64 v[4:5], v[4:5], 3, v[0:1]
	s_waitcnt lgkmcnt(0)
	global_store_dwordx2 v[4:5], v[8:9], off
	v_add_u32_e32 v4, 48, v38
	v_mov_b32_e32 v5, v39
	v_lshl_add_u64 v[8:9], v[4:5], 3, v[0:1]
	ds_read2_b64 v[4:7], v2 offset0:64 offset1:80
	global_store_dwordx2 v[8:9], v[10:11], off
	v_add_u32_e32 v8, 64, v38
	v_mov_b32_e32 v9, v39
	v_lshl_add_u64 v[8:9], v[8:9], 3, v[0:1]
	s_waitcnt lgkmcnt(0)
	global_store_dwordx2 v[8:9], v[4:5], off
	ds_read2_b64 v[8:11], v2 offset0:96 offset1:112
	v_add_u32_e32 v4, 0x50, v38
	v_mov_b32_e32 v5, v39
	v_lshl_add_u64 v[4:5], v[4:5], 3, v[0:1]
	global_store_dwordx2 v[4:5], v[6:7], off
	v_add_u32_e32 v4, 0x60, v38
	v_mov_b32_e32 v5, v39
	v_lshl_add_u64 v[4:5], v[4:5], 3, v[0:1]
	s_waitcnt lgkmcnt(0)
	global_store_dwordx2 v[4:5], v[8:9], off
	v_add_u32_e32 v4, 0x70, v38
	v_mov_b32_e32 v5, v39
	v_lshl_add_u64 v[8:9], v[4:5], 3, v[0:1]
	ds_read2_b64 v[4:7], v2 offset0:128 offset1:144
	global_store_dwordx2 v[8:9], v[10:11], off
	v_add_u32_e32 v8, 0x80, v38
	v_mov_b32_e32 v9, v39
	;; [unrolled: 20-line block ×3, first 2 shown]
	v_lshl_add_u64 v[8:9], v[8:9], 3, v[0:1]
	s_waitcnt lgkmcnt(0)
	global_store_dwordx2 v[8:9], v[4:5], off
	ds_read2_b64 v[8:11], v2 offset0:224 offset1:240
	v_add_u32_e32 v4, 0xd0, v38
	v_mov_b32_e32 v5, v39
	v_lshl_add_u64 v[4:5], v[4:5], 3, v[0:1]
	global_store_dwordx2 v[4:5], v[6:7], off
	v_add_u32_e32 v4, 0xe0, v38
	v_mov_b32_e32 v5, v39
	v_lshl_add_u64 v[4:5], v[4:5], 3, v[0:1]
	s_waitcnt lgkmcnt(0)
	global_store_dwordx2 v[4:5], v[8:9], off
	v_add_u32_e32 v4, 0xf0, v38
	v_mov_b32_e32 v5, v39
	v_add_u32_e32 v3, 0x800, v2
	v_lshl_add_u64 v[8:9], v[4:5], 3, v[0:1]
	ds_read2_b64 v[4:7], v3 offset1:16
	global_store_dwordx2 v[8:9], v[10:11], off
	v_add_u32_e32 v8, 0x100, v38
	v_mov_b32_e32 v9, v39
	v_lshl_add_u64 v[8:9], v[8:9], 3, v[0:1]
	s_waitcnt lgkmcnt(0)
	global_store_dwordx2 v[8:9], v[4:5], off
	ds_read2_b64 v[8:11], v3 offset0:32 offset1:48
	v_add_u32_e32 v4, 0x110, v38
	v_mov_b32_e32 v5, v39
	v_lshl_add_u64 v[4:5], v[4:5], 3, v[0:1]
	global_store_dwordx2 v[4:5], v[6:7], off
	v_add_u32_e32 v4, 0x120, v38
	v_mov_b32_e32 v5, v39
	v_lshl_add_u64 v[4:5], v[4:5], 3, v[0:1]
	s_waitcnt lgkmcnt(0)
	global_store_dwordx2 v[4:5], v[8:9], off
	v_add_u32_e32 v4, 0x130, v38
	v_mov_b32_e32 v5, v39
	v_lshl_add_u64 v[4:5], v[4:5], 3, v[0:1]
	v_cmp_eq_u32_e32 vcc, 15, v38
	global_store_dwordx2 v[4:5], v[10:11], off
	s_and_b64 exec, exec, vcc
	s_cbranch_execz .LBB0_20
; %bb.19:
	ds_read_b64 v[2:3], v2 offset:2440
	s_waitcnt lgkmcnt(0)
	global_store_dwordx2 v[0:1], v[2:3], off offset:2560
.LBB0_20:
	s_endpgm
	.section	.rodata,"a",@progbits
	.p2align	6, 0x0
	.amdhsa_kernel fft_rtc_back_len320_factors_10_4_4_2_wgs_64_tpt_16_halfLds_sp_op_CI_CI_unitstride_sbrr_R2C_dirReg
		.amdhsa_group_segment_fixed_size 0
		.amdhsa_private_segment_fixed_size 0
		.amdhsa_kernarg_size 104
		.amdhsa_user_sgpr_count 2
		.amdhsa_user_sgpr_dispatch_ptr 0
		.amdhsa_user_sgpr_queue_ptr 0
		.amdhsa_user_sgpr_kernarg_segment_ptr 1
		.amdhsa_user_sgpr_dispatch_id 0
		.amdhsa_user_sgpr_kernarg_preload_length 0
		.amdhsa_user_sgpr_kernarg_preload_offset 0
		.amdhsa_user_sgpr_private_segment_size 0
		.amdhsa_uses_dynamic_stack 0
		.amdhsa_enable_private_segment 0
		.amdhsa_system_sgpr_workgroup_id_x 1
		.amdhsa_system_sgpr_workgroup_id_y 0
		.amdhsa_system_sgpr_workgroup_id_z 0
		.amdhsa_system_sgpr_workgroup_info 0
		.amdhsa_system_vgpr_workitem_id 0
		.amdhsa_next_free_vgpr 125
		.amdhsa_next_free_sgpr 28
		.amdhsa_accum_offset 128
		.amdhsa_reserve_vcc 1
		.amdhsa_float_round_mode_32 0
		.amdhsa_float_round_mode_16_64 0
		.amdhsa_float_denorm_mode_32 3
		.amdhsa_float_denorm_mode_16_64 3
		.amdhsa_dx10_clamp 1
		.amdhsa_ieee_mode 1
		.amdhsa_fp16_overflow 0
		.amdhsa_tg_split 0
		.amdhsa_exception_fp_ieee_invalid_op 0
		.amdhsa_exception_fp_denorm_src 0
		.amdhsa_exception_fp_ieee_div_zero 0
		.amdhsa_exception_fp_ieee_overflow 0
		.amdhsa_exception_fp_ieee_underflow 0
		.amdhsa_exception_fp_ieee_inexact 0
		.amdhsa_exception_int_div_zero 0
	.end_amdhsa_kernel
	.text
.Lfunc_end0:
	.size	fft_rtc_back_len320_factors_10_4_4_2_wgs_64_tpt_16_halfLds_sp_op_CI_CI_unitstride_sbrr_R2C_dirReg, .Lfunc_end0-fft_rtc_back_len320_factors_10_4_4_2_wgs_64_tpt_16_halfLds_sp_op_CI_CI_unitstride_sbrr_R2C_dirReg
                                        ; -- End function
	.section	.AMDGPU.csdata,"",@progbits
; Kernel info:
; codeLenInByte = 9940
; NumSgprs: 34
; NumVgprs: 125
; NumAgprs: 0
; TotalNumVgprs: 125
; ScratchSize: 0
; MemoryBound: 0
; FloatMode: 240
; IeeeMode: 1
; LDSByteSize: 0 bytes/workgroup (compile time only)
; SGPRBlocks: 4
; VGPRBlocks: 15
; NumSGPRsForWavesPerEU: 34
; NumVGPRsForWavesPerEU: 125
; AccumOffset: 128
; Occupancy: 4
; WaveLimiterHint : 1
; COMPUTE_PGM_RSRC2:SCRATCH_EN: 0
; COMPUTE_PGM_RSRC2:USER_SGPR: 2
; COMPUTE_PGM_RSRC2:TRAP_HANDLER: 0
; COMPUTE_PGM_RSRC2:TGID_X_EN: 1
; COMPUTE_PGM_RSRC2:TGID_Y_EN: 0
; COMPUTE_PGM_RSRC2:TGID_Z_EN: 0
; COMPUTE_PGM_RSRC2:TIDIG_COMP_CNT: 0
; COMPUTE_PGM_RSRC3_GFX90A:ACCUM_OFFSET: 31
; COMPUTE_PGM_RSRC3_GFX90A:TG_SPLIT: 0
	.text
	.p2alignl 6, 3212836864
	.fill 256, 4, 3212836864
	.type	__hip_cuid_6b0a78e5bb59c071,@object ; @__hip_cuid_6b0a78e5bb59c071
	.section	.bss,"aw",@nobits
	.globl	__hip_cuid_6b0a78e5bb59c071
__hip_cuid_6b0a78e5bb59c071:
	.byte	0                               ; 0x0
	.size	__hip_cuid_6b0a78e5bb59c071, 1

	.ident	"AMD clang version 19.0.0git (https://github.com/RadeonOpenCompute/llvm-project roc-6.4.0 25133 c7fe45cf4b819c5991fe208aaa96edf142730f1d)"
	.section	".note.GNU-stack","",@progbits
	.addrsig
	.addrsig_sym __hip_cuid_6b0a78e5bb59c071
	.amdgpu_metadata
---
amdhsa.kernels:
  - .agpr_count:     0
    .args:
      - .actual_access:  read_only
        .address_space:  global
        .offset:         0
        .size:           8
        .value_kind:     global_buffer
      - .offset:         8
        .size:           8
        .value_kind:     by_value
      - .actual_access:  read_only
        .address_space:  global
        .offset:         16
        .size:           8
        .value_kind:     global_buffer
      - .actual_access:  read_only
        .address_space:  global
        .offset:         24
        .size:           8
        .value_kind:     global_buffer
      - .actual_access:  read_only
        .address_space:  global
        .offset:         32
        .size:           8
        .value_kind:     global_buffer
      - .offset:         40
        .size:           8
        .value_kind:     by_value
      - .actual_access:  read_only
        .address_space:  global
        .offset:         48
        .size:           8
        .value_kind:     global_buffer
      - .actual_access:  read_only
        .address_space:  global
        .offset:         56
        .size:           8
        .value_kind:     global_buffer
      - .offset:         64
        .size:           4
        .value_kind:     by_value
      - .actual_access:  read_only
        .address_space:  global
        .offset:         72
        .size:           8
        .value_kind:     global_buffer
      - .actual_access:  read_only
        .address_space:  global
        .offset:         80
        .size:           8
        .value_kind:     global_buffer
      - .actual_access:  read_only
        .address_space:  global
        .offset:         88
        .size:           8
        .value_kind:     global_buffer
      - .actual_access:  write_only
        .address_space:  global
        .offset:         96
        .size:           8
        .value_kind:     global_buffer
    .group_segment_fixed_size: 0
    .kernarg_segment_align: 8
    .kernarg_segment_size: 104
    .language:       OpenCL C
    .language_version:
      - 2
      - 0
    .max_flat_workgroup_size: 64
    .name:           fft_rtc_back_len320_factors_10_4_4_2_wgs_64_tpt_16_halfLds_sp_op_CI_CI_unitstride_sbrr_R2C_dirReg
    .private_segment_fixed_size: 0
    .sgpr_count:     34
    .sgpr_spill_count: 0
    .symbol:         fft_rtc_back_len320_factors_10_4_4_2_wgs_64_tpt_16_halfLds_sp_op_CI_CI_unitstride_sbrr_R2C_dirReg.kd
    .uniform_work_group_size: 1
    .uses_dynamic_stack: false
    .vgpr_count:     125
    .vgpr_spill_count: 0
    .wavefront_size: 64
amdhsa.target:   amdgcn-amd-amdhsa--gfx950
amdhsa.version:
  - 1
  - 2
...

	.end_amdgpu_metadata
